;; amdgpu-corpus repo=ROCm/rocFFT kind=compiled arch=gfx950 opt=O3
	.text
	.amdgcn_target "amdgcn-amd-amdhsa--gfx950"
	.amdhsa_code_object_version 6
	.protected	fft_rtc_back_len80_factors_2_2_4_5_wgs_255_tpt_5_halfLds_dim2_sp_ip_CI_sbcc_twdbase8_2step_dirReg ; -- Begin function fft_rtc_back_len80_factors_2_2_4_5_wgs_255_tpt_5_halfLds_dim2_sp_ip_CI_sbcc_twdbase8_2step_dirReg
	.globl	fft_rtc_back_len80_factors_2_2_4_5_wgs_255_tpt_5_halfLds_dim2_sp_ip_CI_sbcc_twdbase8_2step_dirReg
	.p2align	8
	.type	fft_rtc_back_len80_factors_2_2_4_5_wgs_255_tpt_5_halfLds_dim2_sp_ip_CI_sbcc_twdbase8_2step_dirReg,@function
fft_rtc_back_len80_factors_2_2_4_5_wgs_255_tpt_5_halfLds_dim2_sp_ip_CI_sbcc_twdbase8_2step_dirReg: ; @fft_rtc_back_len80_factors_2_2_4_5_wgs_255_tpt_5_halfLds_dim2_sp_ip_CI_sbcc_twdbase8_2step_dirReg
; %bb.0:
	s_load_dwordx4 s[4:7], s[0:1], 0x10
	s_mov_b32 s3, 0
	s_waitcnt lgkmcnt(0)
	s_load_dwordx2 s[16:17], s[4:5], 0x8
	s_load_dwordx2 s[14:15], s[0:1], 0x50
	;; [unrolled: 1-line block ×3, first 2 shown]
	s_mov_b64 s[4:5], -1
	s_waitcnt lgkmcnt(0)
	s_add_u32 s8, s16, -1
	s_addc_u32 s9, s17, -1
	s_add_u32 s10, 0, 0x504ad00
	s_addc_u32 s11, 0, 21
	s_add_i32 s11, s11, 0x50504f0
	s_mul_hi_u32 s21, s10, 0xffffffcd
	s_sub_i32 s21, s21, s10
	s_mul_i32 s22, s11, 0xffffffcd
	s_mul_i32 s18, s10, 0xffffffcd
	s_add_i32 s21, s21, s22
	s_mul_hi_u32 s19, s11, s18
	s_mul_i32 s20, s11, s18
	s_mul_i32 s23, s10, s21
	s_mul_hi_u32 s18, s10, s18
	s_mul_hi_u32 s22, s10, s21
	s_add_u32 s18, s18, s23
	s_addc_u32 s22, 0, s22
	s_add_u32 s18, s18, s20
	s_mul_hi_u32 s23, s11, s21
	s_addc_u32 s18, s22, s19
	s_addc_u32 s19, s23, 0
	s_mul_i32 s20, s11, s21
	s_add_u32 s18, s18, s20
	v_mov_b32_e32 v1, s18
	s_addc_u32 s19, 0, s19
	v_add_co_u32_e32 v1, vcc, s10, v1
	s_cmp_lg_u64 vcc, 0
	s_addc_u32 s10, s11, s19
	v_readfirstlane_b32 s19, v1
	s_mul_i32 s18, s8, s10
	s_mul_hi_u32 s20, s8, s19
	s_mul_hi_u32 s11, s8, s10
	s_add_u32 s18, s20, s18
	s_addc_u32 s11, 0, s11
	s_mul_hi_u32 s21, s9, s19
	s_mul_i32 s19, s9, s19
	s_add_u32 s18, s18, s19
	s_mul_hi_u32 s20, s9, s10
	s_addc_u32 s11, s11, s21
	s_addc_u32 s18, s20, 0
	s_mul_i32 s10, s9, s10
	s_add_u32 s10, s11, s10
	s_addc_u32 s11, 0, s18
	s_add_u32 s18, s10, 1
	s_addc_u32 s19, s11, 0
	s_add_u32 s20, s10, 2
	s_mul_i32 s22, s11, 51
	s_mul_hi_u32 s23, s10, 51
	s_addc_u32 s21, s11, 0
	s_add_i32 s23, s23, s22
	s_mul_i32 s22, s10, 51
	v_mov_b32_e32 v1, s22
	v_sub_co_u32_e32 v1, vcc, s8, v1
	s_cmp_lg_u64 vcc, 0
	s_subb_u32 s8, s9, s23
	v_subrev_co_u32_e32 v2, vcc, 51, v1
	s_cmp_lg_u64 vcc, 0
	s_subb_u32 s9, s8, 0
	v_readfirstlane_b32 s22, v2
	s_cmp_gt_u32 s22, 50
	s_cselect_b32 s22, -1, 0
	s_cmp_eq_u32 s9, 0
	s_cselect_b32 s9, s22, -1
	s_cmp_lg_u32 s9, 0
	s_cselect_b32 s9, s20, s18
	s_cselect_b32 s18, s21, s19
	v_readfirstlane_b32 s19, v1
	s_cmp_gt_u32 s19, 50
	s_cselect_b32 s19, -1, 0
	s_cmp_eq_u32 s8, 0
	s_cselect_b32 s8, s19, -1
	s_cmp_lg_u32 s8, 0
	s_cselect_b32 s8, s9, s10
	s_cselect_b32 s11, s18, s11
	s_add_u32 s8, s8, 1
	s_addc_u32 s9, s11, 0
	v_mov_b64_e32 v[2:3], s[8:9]
	v_cmp_lt_u64_e32 vcc, s[2:3], v[2:3]
	s_mov_b64 s[20:21], 0
	s_cbranch_vccnz .LBB0_2
; %bb.1:
	v_cvt_f32_u32_e32 v1, s8
	s_sub_i32 s3, 0, s8
	v_rcp_iflag_f32_e32 v1, v1
	s_nop 0
	v_mul_f32_e32 v1, 0x4f7ffffe, v1
	v_cvt_u32_f32_e32 v1, v1
	s_nop 0
	v_readfirstlane_b32 s10, v1
	s_mul_i32 s3, s3, s10
	s_mul_hi_u32 s3, s10, s3
	s_add_i32 s10, s10, s3
	s_mul_hi_u32 s3, s2, s10
	s_mul_i32 s11, s3, s8
	s_sub_i32 s11, s2, s11
	s_add_i32 s10, s3, 1
	s_sub_i32 s18, s11, s8
	s_cmp_ge_u32 s11, s8
	s_cselect_b32 s3, s10, s3
	s_cselect_b32 s11, s18, s11
	s_add_i32 s10, s3, 1
	s_cmp_ge_u32 s11, s8
	s_cselect_b32 s20, s10, s3
.LBB0_2:
	s_mul_i32 s3, s20, s9
	s_mul_hi_u32 s9, s20, s8
	s_add_i32 s9, s9, s3
	s_mul_i32 s3, s20, s8
	s_sub_u32 s2, s2, s3
	s_subb_u32 s3, 0, s9
	s_load_dwordx4 s[8:11], s[6:7], 0x8
	s_mul_i32 s21, s3, 51
	s_mul_hi_u32 s3, s2, 51
	s_mul_i32 s23, s2, 51
	s_add_i32 s22, s3, s21
	s_waitcnt lgkmcnt(0)
	s_mul_i32 s6, s23, s9
	s_mul_hi_u32 s7, s23, s8
	s_mul_i32 s3, s22, s8
	s_add_i32 s6, s7, s6
	s_mul_i32 s7, s11, s20
	s_mul_hi_u32 s11, s10, s20
	s_add_i32 s3, s6, s3
	s_mul_i32 s6, s23, s8
	s_add_i32 s11, s11, s7
	s_mul_i32 s7, s10, s20
	s_add_u32 s6, s7, s6
	v_mul_u32_u24_e32 v1, 0x506, v0
	s_load_dwordx2 s[18:19], s[0:1], 0x0
	s_addc_u32 s7, s11, s3
	v_lshrrev_b32_e32 v1, 16, v1
	v_mul_lo_u16_e32 v2, 51, v1
	s_add_u32 s10, s23, 51
	v_sub_u16_e32 v18, v0, v2
	v_mov_b32_e32 v19, 0
	s_addc_u32 s11, s22, 0
	v_mov_b64_e32 v[2:3], s[16:17]
	v_mad_u64_u32 v[20:21], s[2:3], s2, 51, v[18:19]
	v_cmp_gt_u64_e32 vcc, s[10:11], v[2:3]
	v_add_u32_e32 v21, s21, v21
	v_cmp_le_u64_e64 s[2:3], s[10:11], v[2:3]
	s_and_b64 vcc, exec, vcc
	v_add_u32_e32 v42, 5, v1
	v_add_u32_e32 v44, 10, v1
	;; [unrolled: 1-line block ×7, first 2 shown]
	s_cbranch_vccnz .LBB0_4
; %bb.3:
	v_mad_u64_u32 v[2:3], s[4:5], s8, v18, 0
	v_mov_b32_e32 v4, v3
	v_mad_u64_u32 v[4:5], s[4:5], s9, v18, v[4:5]
	v_mov_b32_e32 v3, v4
	;; [unrolled: 2-line block ×3, first 2 shown]
	v_mad_u64_u32 v[6:7], s[4:5], s13, v1, v[6:7]
	s_lshl_b64 s[4:5], s[6:7], 3
	s_add_u32 s4, s14, s4
	s_addc_u32 s5, s15, s5
	v_mov_b32_e32 v5, v6
	v_lshl_add_u64 v[26:27], v[2:3], 3, s[4:5]
	v_lshl_add_u64 v[6:7], v[4:5], 3, v[26:27]
	v_or_b32_e32 v5, 40, v1
	v_mad_u64_u32 v[2:3], s[4:5], s12, v5, 0
	v_mov_b32_e32 v4, v3
	v_mad_u64_u32 v[4:5], s[4:5], s13, v5, v[4:5]
	v_mov_b32_e32 v3, v4
	v_add_u32_e32 v45, 5, v1
	v_lshl_add_u64 v[8:9], v[2:3], 3, v[26:27]
	v_mad_u64_u32 v[2:3], s[4:5], s12, v45, 0
	v_mov_b32_e32 v4, v3
	v_mad_u64_u32 v[4:5], s[4:5], s13, v45, v[4:5]
	v_mov_b32_e32 v3, v4
	v_add_u32_e32 v5, 45, v1
	v_lshl_add_u64 v[14:15], v[2:3], 3, v[26:27]
	v_mad_u64_u32 v[2:3], s[4:5], s12, v5, 0
	v_mov_b32_e32 v4, v3
	v_mad_u64_u32 v[4:5], s[4:5], s13, v5, v[4:5]
	v_mov_b32_e32 v3, v4
	v_add_u32_e32 v19, 10, v1
	v_lshl_add_u64 v[16:17], v[2:3], 3, v[26:27]
	global_load_dwordx2 v[10:11], v[6:7], off
	global_load_dwordx2 v[12:13], v[8:9], off
	;; [unrolled: 1-line block ×4, first 2 shown]
	v_mad_u64_u32 v[6:7], s[4:5], s12, v19, 0
	v_mov_b32_e32 v8, v7
	v_mad_u64_u32 v[8:9], s[4:5], s13, v19, v[8:9]
	v_mov_b32_e32 v7, v8
	v_add_u32_e32 v9, 50, v1
	v_lshl_add_u64 v[14:15], v[6:7], 3, v[26:27]
	v_mad_u64_u32 v[6:7], s[4:5], s12, v9, 0
	v_mov_b32_e32 v8, v7
	v_mad_u64_u32 v[8:9], s[4:5], s13, v9, v[8:9]
	v_mov_b32_e32 v7, v8
	v_add_u32_e32 v43, 15, v1
	v_lshl_add_u64 v[16:17], v[6:7], 3, v[26:27]
	;; [unrolled: 6-line block ×4, first 2 shown]
	global_load_dwordx2 v[8:9], v[14:15], off
	global_load_dwordx2 v[24:25], v[16:17], off
	;; [unrolled: 1-line block ×4, first 2 shown]
	v_mad_u64_u32 v[14:15], s[4:5], s12, v38, 0
	v_mov_b32_e32 v16, v15
	v_mad_u64_u32 v[16:17], s[4:5], s13, v38, v[16:17]
	v_mov_b32_e32 v15, v16
	v_add_u32_e32 v17, 60, v1
	v_lshl_add_u64 v[28:29], v[14:15], 3, v[26:27]
	v_mad_u64_u32 v[14:15], s[4:5], s12, v17, 0
	v_mov_b32_e32 v16, v15
	v_mad_u64_u32 v[16:17], s[4:5], s13, v17, v[16:17]
	v_mov_b32_e32 v15, v16
	v_add_u32_e32 v39, 25, v1
	v_lshl_add_u64 v[34:35], v[14:15], 3, v[26:27]
	;; [unrolled: 6-line block ×3, first 2 shown]
	v_mad_u64_u32 v[14:15], s[4:5], s12, v17, 0
	v_mov_b32_e32 v16, v15
	v_mad_u64_u32 v[16:17], s[4:5], s13, v17, v[16:17]
	v_mov_b32_e32 v15, v16
	v_lshl_add_u64 v[40:41], v[14:15], 3, v[26:27]
	global_load_dwordx2 v[16:17], v[28:29], off
	global_load_dwordx2 v[32:33], v[34:35], off
	;; [unrolled: 1-line block ×4, first 2 shown]
	v_add_u32_e32 v40, 30, v1
	v_mad_u64_u32 v[28:29], s[4:5], s12, v40, 0
	v_mov_b32_e32 v34, v29
	v_mad_u64_u32 v[34:35], s[4:5], s13, v40, v[34:35]
	v_mov_b32_e32 v29, v34
	v_add_u32_e32 v35, 0x46, v1
	v_lshl_add_u64 v[52:53], v[28:29], 3, v[26:27]
	v_mad_u64_u32 v[28:29], s[4:5], s12, v35, 0
	v_mov_b32_e32 v34, v29
	v_mad_u64_u32 v[34:35], s[4:5], s13, v35, v[34:35]
	v_mov_b32_e32 v29, v34
	v_add_u32_e32 v41, 35, v1
	v_lshl_add_u64 v[54:55], v[28:29], 3, v[26:27]
	;; [unrolled: 6-line block ×3, first 2 shown]
	v_mad_u64_u32 v[28:29], s[4:5], s12, v35, 0
	v_mov_b32_e32 v34, v29
	v_mad_u64_u32 v[34:35], s[4:5], s13, v35, v[34:35]
	v_mov_b32_e32 v29, v34
	v_lshl_add_u64 v[58:59], v[28:29], 3, v[26:27]
	global_load_dwordx2 v[28:29], v[52:53], off
	global_load_dwordx2 v[36:37], v[54:55], off
	;; [unrolled: 1-line block ×4, first 2 shown]
	s_cbranch_execz .LBB0_5
	s_branch .LBB0_10
.LBB0_4:
                                        ; implicit-def: $vgpr5
                                        ; implicit-def: $vgpr23
                                        ; implicit-def: $vgpr31
                                        ; implicit-def: $vgpr35
                                        ; implicit-def: $vgpr27
                                        ; implicit-def: $vgpr37
                                        ; implicit-def: $vgpr29
                                        ; implicit-def: $vgpr15
                                        ; implicit-def: $vgpr33
                                        ; implicit-def: $vgpr17
                                        ; implicit-def: $vgpr7
                                        ; implicit-def: $vgpr25
                                        ; implicit-def: $vgpr9
                                        ; implicit-def: $vgpr3
                                        ; implicit-def: $vgpr13
                                        ; implicit-def: $vgpr11
                                        ; implicit-def: $vgpr45
                                        ; implicit-def: $vgpr19
                                        ; implicit-def: $vgpr43
                                        ; implicit-def: $vgpr38
                                        ; implicit-def: $vgpr39
                                        ; implicit-def: $vgpr40
                                        ; implicit-def: $vgpr41
	s_andn2_b64 vcc, exec, s[4:5]
	s_cbranch_vccnz .LBB0_10
.LBB0_5:
	v_cmp_le_u64_e32 vcc, s[16:17], v[20:21]
                                        ; implicit-def: $vgpr45
                                        ; implicit-def: $vgpr19
                                        ; implicit-def: $vgpr43
                                        ; implicit-def: $vgpr38
                                        ; implicit-def: $vgpr39
                                        ; implicit-def: $vgpr40
                                        ; implicit-def: $vgpr41
	s_and_saveexec_b64 s[4:5], vcc
	s_xor_b64 s[4:5], exec, s[4:5]
; %bb.6:
	v_add_u32_e32 v45, 5, v1
	v_add_u32_e32 v19, 10, v1
	;; [unrolled: 1-line block ×7, first 2 shown]
                                        ; implicit-def: $vgpr42
                                        ; implicit-def: $vgpr44
                                        ; implicit-def: $vgpr46
                                        ; implicit-def: $vgpr47
                                        ; implicit-def: $vgpr48
                                        ; implicit-def: $vgpr49
                                        ; implicit-def: $vgpr50
; %bb.7:
	s_or_saveexec_b64 s[4:5], s[4:5]
                                        ; implicit-def: $vgpr5
                                        ; implicit-def: $vgpr23
                                        ; implicit-def: $vgpr31
                                        ; implicit-def: $vgpr35
                                        ; implicit-def: $vgpr27
                                        ; implicit-def: $vgpr37
                                        ; implicit-def: $vgpr29
                                        ; implicit-def: $vgpr15
                                        ; implicit-def: $vgpr33
                                        ; implicit-def: $vgpr17
                                        ; implicit-def: $vgpr7
                                        ; implicit-def: $vgpr25
                                        ; implicit-def: $vgpr9
                                        ; implicit-def: $vgpr3
                                        ; implicit-def: $vgpr13
                                        ; implicit-def: $vgpr11
	s_xor_b64 exec, exec, s[4:5]
	s_cbranch_execz .LBB0_9
; %bb.8:
	s_waitcnt vmcnt(13)
	v_mad_u64_u32 v[2:3], s[10:11], s8, v18, 0
	s_waitcnt vmcnt(12)
	v_mov_b32_e32 v4, v3
	v_mad_u64_u32 v[4:5], s[10:11], s9, v18, v[4:5]
	v_mov_b32_e32 v3, v4
	v_mad_u64_u32 v[4:5], s[10:11], s12, v1, 0
	s_waitcnt vmcnt(9)
	v_mov_b32_e32 v6, v5
	v_mad_u64_u32 v[6:7], s[10:11], s13, v1, v[6:7]
	s_lshl_b64 s[10:11], s[6:7], 3
	s_add_u32 s10, s14, s10
	s_addc_u32 s11, s15, s11
	v_mov_b32_e32 v5, v6
	s_waitcnt vmcnt(1)
	v_lshl_add_u64 v[26:27], v[2:3], 3, s[10:11]
	v_lshl_add_u64 v[6:7], v[4:5], 3, v[26:27]
	v_or_b32_e32 v5, 40, v1
	v_mad_u64_u32 v[2:3], s[10:11], s12, v5, 0
	v_mov_b32_e32 v4, v3
	v_mad_u64_u32 v[4:5], s[10:11], s13, v5, v[4:5]
	v_mov_b32_e32 v3, v4
	v_lshl_add_u64 v[8:9], v[2:3], 3, v[26:27]
	v_mad_u64_u32 v[2:3], s[10:11], s12, v42, 0
	v_mov_b32_e32 v4, v3
	v_mad_u64_u32 v[4:5], s[10:11], s13, v42, v[4:5]
	v_mov_b32_e32 v3, v4
	v_add_u32_e32 v5, 45, v1
	v_lshl_add_u64 v[14:15], v[2:3], 3, v[26:27]
	v_mad_u64_u32 v[2:3], s[10:11], s12, v5, 0
	v_mov_b32_e32 v4, v3
	v_mad_u64_u32 v[4:5], s[10:11], s13, v5, v[4:5]
	v_mov_b32_e32 v3, v4
	v_lshl_add_u64 v[16:17], v[2:3], 3, v[26:27]
	global_load_dwordx2 v[10:11], v[6:7], off
	global_load_dwordx2 v[12:13], v[8:9], off
	;; [unrolled: 1-line block ×4, first 2 shown]
	v_mad_u64_u32 v[6:7], s[10:11], s12, v44, 0
	v_mov_b32_e32 v8, v7
	v_mad_u64_u32 v[8:9], s[10:11], s13, v44, v[8:9]
	v_mov_b32_e32 v7, v8
	v_add_u32_e32 v9, 50, v1
	v_lshl_add_u64 v[14:15], v[6:7], 3, v[26:27]
	v_mad_u64_u32 v[6:7], s[10:11], s12, v9, 0
	v_mov_b32_e32 v8, v7
	v_mad_u64_u32 v[8:9], s[10:11], s13, v9, v[8:9]
	v_mov_b32_e32 v7, v8
	v_lshl_add_u64 v[16:17], v[6:7], 3, v[26:27]
	v_mad_u64_u32 v[6:7], s[10:11], s12, v46, 0
	v_mov_b32_e32 v8, v7
	v_mad_u64_u32 v[8:9], s[10:11], s13, v46, v[8:9]
	v_mov_b32_e32 v7, v8
	v_add_u32_e32 v9, 55, v1
	v_lshl_add_u64 v[28:29], v[6:7], 3, v[26:27]
	v_mad_u64_u32 v[6:7], s[10:11], s12, v9, 0
	v_mov_b32_e32 v8, v7
	v_mad_u64_u32 v[8:9], s[10:11], s13, v9, v[8:9]
	v_mov_b32_e32 v7, v8
	v_lshl_add_u64 v[30:31], v[6:7], 3, v[26:27]
	global_load_dwordx2 v[8:9], v[14:15], off
	global_load_dwordx2 v[24:25], v[16:17], off
	;; [unrolled: 1-line block ×4, first 2 shown]
	v_mad_u64_u32 v[14:15], s[10:11], s12, v47, 0
	v_mov_b32_e32 v16, v15
	v_mad_u64_u32 v[16:17], s[10:11], s13, v47, v[16:17]
	v_mov_b32_e32 v15, v16
	v_add_u32_e32 v17, 60, v1
	v_lshl_add_u64 v[28:29], v[14:15], 3, v[26:27]
	v_mad_u64_u32 v[14:15], s[10:11], s12, v17, 0
	v_mov_b32_e32 v16, v15
	v_mad_u64_u32 v[16:17], s[10:11], s13, v17, v[16:17]
	v_mov_b32_e32 v15, v16
	s_waitcnt vmcnt(8)
	v_lshl_add_u64 v[34:35], v[14:15], 3, v[26:27]
	v_mad_u64_u32 v[14:15], s[10:11], s12, v48, 0
	v_mov_b32_e32 v16, v15
	v_mad_u64_u32 v[16:17], s[10:11], s13, v48, v[16:17]
	v_mov_b32_e32 v15, v16
	v_add_u32_e32 v17, 0x41, v1
	v_lshl_add_u64 v[36:37], v[14:15], 3, v[26:27]
	v_mad_u64_u32 v[14:15], s[10:11], s12, v17, 0
	v_mov_b32_e32 v16, v15
	v_mad_u64_u32 v[16:17], s[10:11], s13, v17, v[16:17]
	v_mov_b32_e32 v15, v16
	v_lshl_add_u64 v[38:39], v[14:15], 3, v[26:27]
	global_load_dwordx2 v[16:17], v[28:29], off
	global_load_dwordx2 v[32:33], v[34:35], off
	;; [unrolled: 1-line block ×4, first 2 shown]
	v_mad_u64_u32 v[28:29], s[10:11], s12, v49, 0
	v_mov_b32_e32 v34, v29
	v_mad_u64_u32 v[34:35], s[10:11], s13, v49, v[34:35]
	v_mov_b32_e32 v29, v34
	v_add_u32_e32 v19, 0x46, v1
	v_lshl_add_u64 v[38:39], v[28:29], 3, v[26:27]
	v_mad_u64_u32 v[28:29], s[10:11], s12, v19, 0
	v_mov_b32_e32 v34, v29
	v_mad_u64_u32 v[34:35], s[10:11], s13, v19, v[34:35]
	v_mov_b32_e32 v29, v34
	v_lshl_add_u64 v[40:41], v[28:29], 3, v[26:27]
	v_mad_u64_u32 v[28:29], s[10:11], s12, v50, 0
	v_mov_b32_e32 v34, v29
	v_mad_u64_u32 v[34:35], s[10:11], s13, v50, v[34:35]
	v_mov_b32_e32 v29, v34
	v_add_u32_e32 v19, 0x4b, v1
	v_lshl_add_u64 v[52:53], v[28:29], 3, v[26:27]
	v_mad_u64_u32 v[28:29], s[10:11], s12, v19, 0
	v_mov_b32_e32 v34, v29
	v_mad_u64_u32 v[34:35], s[10:11], s13, v19, v[34:35]
	v_mov_b32_e32 v29, v34
	v_lshl_add_u64 v[54:55], v[28:29], 3, v[26:27]
	global_load_dwordx2 v[28:29], v[38:39], off
	global_load_dwordx2 v[36:37], v[40:41], off
	;; [unrolled: 1-line block ×4, first 2 shown]
	v_mov_b32_e32 v45, v42
	v_mov_b32_e32 v19, v44
	v_mov_b32_e32 v43, v46
	v_mov_b32_e32 v38, v47
	v_mov_b32_e32 v39, v48
	v_mov_b32_e32 v40, v49
	v_mov_b32_e32 v41, v50
.LBB0_9:
	s_or_b64 exec, exec, s[4:5]
.LBB0_10:
	s_waitcnt vmcnt(14)
	v_pk_add_f32 v[12:13], v[10:11], v[12:13] neg_lo:[0,1] neg_hi:[0,1]
	s_waitcnt vmcnt(2)
	v_pk_add_f32 v[36:37], v[28:29], v[36:37] neg_lo:[0,1] neg_hi:[0,1]
	v_fma_f32 v42, v10, 2.0, -v12
	v_fma_f32 v44, v11, 2.0, -v13
	v_pk_add_f32 v[10:11], v[8:9], v[24:25] neg_lo:[0,1] neg_hi:[0,1]
	v_fma_f32 v25, v28, 2.0, -v36
	v_mul_u32_u24_e32 v28, 0x198, v1
	v_lshlrev_b32_e32 v24, 2, v18
	v_add3_u32 v28, 0, v28, v24
	v_pk_add_f32 v[4:5], v[2:3], v[4:5] neg_lo:[0,1] neg_hi:[0,1]
	ds_write2_b32 v28, v42, v12 offset1:51
	v_mul_i32_i24_e32 v12, 0x198, v45
	v_fma_f32 v2, v2, 2.0, -v4
	v_add3_u32 v12, 0, v12, v24
	v_pk_add_f32 v[22:23], v[6:7], v[22:23] neg_lo:[0,1] neg_hi:[0,1]
	ds_write2_b32 v12, v2, v4 offset1:51
	v_mul_i32_i24_e32 v2, 0x198, v19
	v_mul_i32_i24_e32 v4, 0x198, v43
	v_fma_f32 v8, v8, 2.0, -v10
	v_fma_f32 v6, v6, 2.0, -v22
	v_add3_u32 v2, 0, v2, v24
	v_add3_u32 v4, 0, v4, v24
	v_pk_add_f32 v[32:33], v[16:17], v[32:33] neg_lo:[0,1] neg_hi:[0,1]
	v_pk_add_f32 v[50:51], v[14:15], v[30:31] neg_lo:[0,1] neg_hi:[0,1]
	ds_write2_b32 v2, v8, v10 offset1:51
	ds_write2_b32 v4, v6, v22 offset1:51
	v_mul_i32_i24_e32 v6, 0x198, v38
	v_mul_i32_i24_e32 v8, 0x198, v39
	;; [unrolled: 1-line block ×3, first 2 shown]
	v_fma_f32 v16, v16, 2.0, -v32
	v_fma_f32 v14, v14, 2.0, -v50
	v_add3_u32 v6, 0, v6, v24
	v_add3_u32 v8, 0, v8, v24
	;; [unrolled: 1-line block ×3, first 2 shown]
	v_mul_i32_i24_e32 v22, 0xcc, v19
	s_waitcnt vmcnt(0)
	v_pk_add_f32 v[34:35], v[26:27], v[34:35] neg_lo:[0,1] neg_hi:[0,1]
	ds_write2_b32 v6, v16, v32 offset1:51
	ds_write2_b32 v8, v14, v50 offset1:51
	v_mul_i32_i24_e32 v10, 0x198, v40
	v_mul_i32_i24_e32 v14, 0x198, v41
	v_add3_u32 v50, 0, v22, v24
	v_mul_i32_i24_e32 v22, 0xcc, v43
	v_fma_f32 v26, v26, 2.0, -v34
	v_add3_u32 v10, 0, v10, v24
	v_add3_u32 v14, 0, v14, v24
	v_mul_u32_u24_e32 v16, 0xcc, v1
	v_add3_u32 v47, 0, v22, v24
	v_mul_i32_i24_e32 v22, 0xcc, v38
	ds_write2_b32 v10, v25, v36 offset1:51
	ds_write2_b32 v14, v26, v34 offset1:51
	v_add3_u32 v31, 0, v16, v24
	v_add3_u32 v25, 0, v22, v24
	v_mul_i32_i24_e32 v22, 0xcc, v39
	v_mul_i32_i24_e32 v26, 0xcc, v40
	;; [unrolled: 1-line block ×3, first 2 shown]
	v_fma_f32 v3, v3, 2.0, -v5
	s_waitcnt lgkmcnt(0)
	s_barrier
	v_add_u32_e32 v16, 0x1fe0, v31
	v_add3_u32 v22, 0, v22, v24
	v_add3_u32 v26, 0, v26, v24
	;; [unrolled: 1-line block ×3, first 2 shown]
	v_add_u32_e32 v32, 0x27d8, v31
	v_add_u32_e32 v34, 0x2fd0, v31
	;; [unrolled: 1-line block ×3, first 2 shown]
	ds_read_b32 v42, v31
	ds_read_b32 v46, v49
	;; [unrolled: 1-line block ×8, first 2 shown]
	ds_read2_b32 v[52:53], v16 offset1:255
	ds_read2_b32 v[54:55], v32 offset1:255
	;; [unrolled: 1-line block ×4, first 2 shown]
	s_waitcnt lgkmcnt(0)
	s_barrier
	ds_write2_b32 v28, v44, v13 offset1:51
	ds_write2_b32 v12, v3, v5 offset1:51
	v_fma_f32 v3, v9, 2.0, -v11
	ds_write2_b32 v2, v3, v11 offset1:51
	v_fma_f32 v2, v7, 2.0, -v23
	v_fma_f32 v3, v17, 2.0, -v33
	;; [unrolled: 1-line block ×5, first 2 shown]
	ds_write2_b32 v4, v2, v23 offset1:51
	ds_write2_b32 v6, v3, v33 offset1:51
	;; [unrolled: 1-line block ×5, first 2 shown]
	v_and_b32_e32 v23, 1, v45
	v_lshlrev_b32_e32 v2, 3, v23
	s_waitcnt lgkmcnt(0)
	s_barrier
	global_load_dwordx2 v[2:3], v2, s[18:19]
	v_and_b32_e32 v28, 1, v43
	v_and_b32_e32 v27, 1, v1
	v_lshlrev_b32_e32 v11, 3, v28
	v_and_b32_e32 v29, 1, v39
	v_lshlrev_b32_e32 v10, 3, v27
	v_lshlrev_b32_e32 v12, 3, v29
	global_load_dwordx2 v[4:5], v11, s[18:19]
	global_load_dwordx2 v[6:7], v12, s[18:19]
	;; [unrolled: 1-line block ×3, first 2 shown]
	v_and_b32_e32 v33, 1, v41
	v_lshlrev_b32_e32 v10, 3, v33
	global_load_dwordx2 v[10:11], v10, s[18:19]
	ds_read2_b32 v[12:13], v16 offset1:255
	ds_read2_b32 v[14:15], v32 offset1:255
	;; [unrolled: 1-line block ×3, first 2 shown]
	s_movk_i32 s4, 0x1ffc
	v_add_u32_e32 v80, 0xcc0, v31
	v_add_u32_e32 v79, 0x1980, v31
	;; [unrolled: 1-line block ×4, first 2 shown]
	v_lshl_add_u32 v75, v18, 2, 0
	s_waitcnt vmcnt(4) lgkmcnt(2)
	v_mul_f32_e32 v32, v13, v3
	v_mul_f32_e32 v3, v53, v3
	v_fmac_f32_e32 v32, v53, v2
	v_fma_f32 v13, v13, v2, -v3
	ds_read2_b32 v[2:3], v36 offset1:255
	s_waitcnt vmcnt(2) lgkmcnt(1)
	v_mul_f32_e32 v37, v17, v7
	s_waitcnt vmcnt(1)
	v_mul_f32_e32 v35, v52, v9
	v_mul_f32_e32 v36, v54, v9
	;; [unrolled: 1-line block ×3, first 2 shown]
	v_fma_f32 v12, v12, v8, -v35
	v_mul_f32_e32 v35, v14, v9
	v_fma_f32 v14, v14, v8, -v36
	v_mul_f32_e32 v36, v15, v5
	v_mul_f32_e32 v5, v55, v5
	v_fmac_f32_e32 v36, v55, v4
	v_fma_f32 v4, v15, v4, -v5
	v_mul_f32_e32 v15, v56, v9
	v_mul_f32_e32 v5, v16, v9
	v_fma_f32 v15, v16, v8, -v15
	s_waitcnt lgkmcnt(0)
	v_mul_f32_e32 v16, v2, v9
	v_mul_f32_e32 v9, v58, v9
	v_lshlrev_b32_e32 v55, 1, v1
	v_fmac_f32_e32 v34, v52, v8
	v_fma_f32 v2, v2, v8, -v9
	s_waitcnt vmcnt(0)
	v_mul_f32_e32 v9, v59, v11
	v_and_or_b32 v55, v55, 12, v27
	v_fmac_f32_e32 v35, v54, v8
	v_fmac_f32_e32 v5, v56, v8
	;; [unrolled: 1-line block ×3, first 2 shown]
	v_mul_f32_e32 v8, v3, v11
	v_fma_f32 v3, v3, v10, -v9
	v_sub_f32_e32 v9, v42, v34
	v_mul_u32_u24_e32 v55, 0xcc, v55
	v_mul_f32_e32 v7, v57, v7
	v_fma_f32 v11, v42, 2.0, -v9
	v_add3_u32 v55, 0, v55, v24
	v_fmac_f32_e32 v37, v57, v6
	v_fma_f32 v6, v17, v6, -v7
	ds_read_b32 v7, v31
	ds_read_b32 v17, v49
	;; [unrolled: 1-line block ×8, first 2 shown]
	s_waitcnt lgkmcnt(0)
	s_barrier
	ds_write2_b32 v55, v11, v9 offset1:102
	v_lshlrev_b32_e32 v9, 1, v45
	v_lshlrev_b32_e32 v11, 1, v19
	v_and_or_b32 v9, v9, s4, v23
	v_and_or_b32 v11, v11, s4, v27
	v_fmac_f32_e32 v8, v59, v10
	v_sub_f32_e32 v10, v7, v12
	v_sub_f32_e32 v12, v46, v32
	;; [unrolled: 1-line block ×3, first 2 shown]
	v_mul_u32_u24_e32 v9, 0xcc, v9
	v_mul_u32_u24_e32 v11, 0xcc, v11
	v_fma_f32 v32, v46, 2.0, -v12
	v_sub_f32_e32 v42, v44, v14
	v_fma_f32 v14, v48, 2.0, -v34
	v_add3_u32 v9, 0, v9, v24
	v_add3_u32 v11, 0, v11, v24
	ds_write2_b32 v9, v32, v12 offset1:102
	ds_write2_b32 v11, v14, v34 offset1:102
	v_lshlrev_b32_e32 v14, 1, v38
	v_lshlrev_b32_e32 v12, 1, v43
	v_and_or_b32 v14, v14, s4, v27
	v_and_or_b32 v12, v12, s4, v28
	v_mul_u32_u24_e32 v14, 0xcc, v14
	v_sub_f32_e32 v35, v60, v36
	v_sub_f32_e32 v5, v61, v5
	v_mul_u32_u24_e32 v12, 0xcc, v12
	v_add3_u32 v28, 0, v14, v24
	v_lshlrev_b32_e32 v14, 1, v40
	v_fma_f32 v36, v60, 2.0, -v35
	v_sub_f32_e32 v48, v52, v15
	v_fma_f32 v15, v61, 2.0, -v5
	v_add3_u32 v12, 0, v12, v24
	v_and_or_b32 v14, v14, s4, v27
	ds_write2_b32 v12, v36, v35 offset1:102
	ds_write2_b32 v28, v15, v5 offset1:102
	v_lshlrev_b32_e32 v5, 1, v39
	v_mul_u32_u24_e32 v14, 0xcc, v14
	v_and_or_b32 v5, v5, s4, v29
	v_add3_u32 v29, 0, v14, v24
	v_lshlrev_b32_e32 v14, 1, v41
	v_sub_f32_e32 v4, v51, v4
	v_sub_f32_e32 v37, v62, v37
	;; [unrolled: 1-line block ×4, first 2 shown]
	v_mul_u32_u24_e32 v5, 0xcc, v5
	v_and_or_b32 v14, v14, s4, v33
	v_fma_f32 v46, v51, 2.0, -v4
	v_fma_f32 v51, v52, 2.0, -v48
	;; [unrolled: 1-line block ×4, first 2 shown]
	v_sub_f32_e32 v2, v26, v2
	v_fma_f32 v22, v63, 2.0, -v16
	v_sub_f32_e32 v8, v64, v8
	v_sub_f32_e32 v3, v30, v3
	v_add3_u32 v5, 0, v5, v24
	v_mul_u32_u24_e32 v14, 0xcc, v14
	v_fma_f32 v7, v7, 2.0, -v10
	v_sub_f32_e32 v13, v17, v13
	v_fma_f32 v54, v26, 2.0, -v2
	v_fma_f32 v26, v64, 2.0, -v8
	;; [unrolled: 1-line block ×3, first 2 shown]
	ds_write2_b32 v5, v52, v37 offset1:102
	ds_write2_b32 v29, v22, v16 offset1:102
	v_add3_u32 v16, 0, v14, v24
	v_add_u32_e32 v56, 0x1be4, v31
	v_add_u32_e32 v57, 0x2bd4, v31
	;; [unrolled: 1-line block ×5, first 2 shown]
	v_fma_f32 v17, v17, 2.0, -v13
	v_fma_f32 v44, v44, 2.0, -v42
	ds_write2_b32 v16, v26, v8 offset1:102
	s_waitcnt lgkmcnt(0)
	s_barrier
	ds_read_b32 v40, v31
	ds_read2_b32 v[22:23], v56 offset1:255
	ds_read2_b32 v[32:33], v57 offset1:255
	ds_read2_b32 v[26:27], v58 offset1:255
	ds_read2_b32 v[34:35], v59 offset1:255
	ds_read2_b32 v[14:15], v36 offset1:255
	ds_read_b32 v60, v25
	ds_read_b32 v66, v47
	;; [unrolled: 1-line block ×4, first 2 shown]
	ds_read_b32 v62, v31 offset:15300
	s_waitcnt lgkmcnt(0)
	s_barrier
	ds_write2_b32 v55, v7, v10 offset1:102
	ds_write2_b32 v9, v17, v13 offset1:102
	;; [unrolled: 1-line block ×8, first 2 shown]
	v_and_b32_e32 v30, 3, v45
	v_mul_u32_u24_e32 v2, 3, v30
	v_lshlrev_b32_e32 v37, 3, v2
	v_and_b32_e32 v42, 3, v19
	s_waitcnt lgkmcnt(0)
	s_barrier
	global_load_dwordx2 v[16:17], v37, s[18:19] offset:32
	v_mul_u32_u24_e32 v2, 3, v42
	v_lshlrev_b32_e32 v41, 3, v2
	global_load_dwordx2 v[28:29], v41, s[18:19] offset:32
	v_and_b32_e32 v44, 3, v43
	v_mul_u32_u24_e32 v2, 3, v44
	v_lshlrev_b32_e32 v46, 3, v2
	global_load_dwordx2 v[38:39], v46, s[18:19] offset:32
	v_and_b32_e32 v2, 3, v1
	v_mul_u32_u24_e32 v2, 3, v2
	v_lshlrev_b32_e32 v48, 3, v2
	global_load_dwordx2 v[54:55], v48, s[18:19] offset:32
	global_load_dwordx4 v[2:5], v37, s[18:19] offset:16
	global_load_dwordx4 v[6:9], v41, s[18:19] offset:16
	;; [unrolled: 1-line block ×3, first 2 shown]
	ds_read2_b32 v[36:37], v36 offset1:255
	ds_read_b32 v65, v31 offset:15300
	s_movk_i32 s4, 0x3ff0
	s_waitcnt vmcnt(6) lgkmcnt(1)
	v_mul_f32_e32 v48, v36, v17
	v_fmac_f32_e32 v48, v14, v16
	v_mul_f32_e32 v14, v14, v17
	v_fma_f32 v63, v36, v16, -v14
	s_waitcnt vmcnt(5)
	v_mul_f32_e32 v67, v37, v29
	v_mul_f32_e32 v14, v15, v29
	v_fmac_f32_e32 v67, v15, v28
	v_fma_f32 v68, v37, v28, -v14
	global_load_dwordx4 v[14:17], v46, s[18:19] offset:16
	ds_read_b32 v41, v47
	ds_read_b32 v25, v25
	;; [unrolled: 1-line block ×5, first 2 shown]
	ds_read2_b32 v[36:37], v57 offset1:255
	s_waitcnt vmcnt(5)
	v_mul_f32_e32 v28, v62, v39
	s_waitcnt lgkmcnt(6)
	v_fma_f32 v70, v65, v38, -v28
	ds_read2_b32 v[28:29], v58 offset1:255
	v_mul_f32_e32 v46, v65, v39
	v_fmac_f32_e32 v46, v62, v38
	s_waitcnt vmcnt(4) lgkmcnt(1)
	v_mul_f32_e32 v38, v37, v55
	v_fmac_f32_e32 v38, v33, v54
	v_mul_f32_e32 v33, v33, v55
	s_waitcnt vmcnt(3) lgkmcnt(0)
	v_mul_f32_e32 v65, v28, v3
	v_mul_f32_e32 v3, v26, v3
	v_fma_f32 v33, v37, v54, -v33
	v_fmac_f32_e32 v65, v26, v2
	v_fma_f32 v37, v28, v2, -v3
	ds_read2_b32 v[2:3], v56 offset1:255
	s_waitcnt vmcnt(2)
	v_mul_f32_e32 v71, v29, v7
	v_mul_f32_e32 v7, v27, v7
	v_fmac_f32_e32 v71, v27, v6
	v_fma_f32 v7, v29, v6, -v7
	s_waitcnt vmcnt(1)
	v_mul_f32_e32 v6, v25, v11
	v_mul_f32_e32 v11, v60, v11
	v_fmac_f32_e32 v6, v60, v10
	v_fma_f32 v54, v25, v10, -v11
	s_waitcnt lgkmcnt(0)
	v_mul_f32_e32 v10, v3, v13
	v_sub_f32_e32 v55, v6, v38
	v_sub_f32_e32 v56, v54, v33
	ds_read2_b32 v[38:39], v59 offset1:255
	v_lshlrev_b32_e32 v33, 2, v1
	v_fmac_f32_e32 v10, v23, v12
	v_bitop3_b32 v26, v33, 19, v1 bitop3:0xc8
	v_sub_f32_e32 v10, v40, v10
	v_mul_u32_u24_e32 v26, 0xcc, v26
	v_fma_f32 v11, v40, 2.0, -v10
	v_fma_f32 v6, v6, 2.0, -v55
	v_add3_u32 v57, 0, v26, v24
	v_sub_f32_e32 v6, v11, v6
	v_add_f32_e32 v25, v10, v56
	v_add_u32_e32 v58, 0x600, v57
	v_fma_f32 v11, v11, 2.0, -v6
	s_waitcnt lgkmcnt(0)
	s_barrier
	ds_write2_b32 v58, v6, v25 offset0:24 offset1:228
	v_mul_f32_e32 v6, v38, v5
	v_fmac_f32_e32 v6, v34, v4
	v_fma_f32 v10, v10, 2.0, -v25
	v_sub_f32_e32 v6, v61, v6
	v_sub_f32_e32 v62, v65, v48
	v_lshlrev_b32_e32 v27, 2, v45
	ds_write2_b32 v57, v11, v10 offset1:204
	v_fma_f32 v10, v61, 2.0, -v6
	v_sub_f32_e32 v63, v37, v63
	v_fma_f32 v11, v65, 2.0, -v62
	v_and_or_b32 v26, v27, s4, v30
	v_sub_f32_e32 v11, v10, v11
	v_add_f32_e32 v25, v6, v63
	v_mul_u32_u24_e32 v26, 0xcc, v26
	v_fma_f32 v10, v10, 2.0, -v11
	v_fma_f32 v6, v6, 2.0, -v25
	v_add3_u32 v59, 0, v26, v24
	ds_write2_b32 v59, v10, v6 offset1:204
	v_mul_f32_e32 v6, v39, v9
	v_add_u32_e32 v61, 0x600, v59
	v_fmac_f32_e32 v6, v35, v8
	ds_write2_b32 v61, v11, v25 offset0:24 offset1:228
	v_sub_f32_e32 v6, v64, v6
	v_sub_f32_e32 v69, v71, v67
	v_lshlrev_b32_e32 v25, 2, v19
	v_fma_f32 v10, v64, 2.0, -v6
	v_sub_f32_e32 v72, v7, v68
	v_fma_f32 v11, v71, 2.0, -v69
	v_and_or_b32 v28, v25, s4, v42
	v_sub_f32_e32 v11, v10, v11
	v_add_f32_e32 v26, v6, v72
	v_mul_u32_u24_e32 v28, 0xcc, v28
	v_fma_f32 v10, v10, 2.0, -v11
	v_fma_f32 v6, v6, 2.0, -v26
	v_add3_u32 v64, 0, v28, v24
	v_lshlrev_b32_e32 v29, 2, v43
	ds_write2_b32 v64, v10, v6 offset1:204
	v_and_or_b32 v6, v29, s4, v44
	v_mul_u32_u24_e32 v6, 0xcc, v6
	s_waitcnt vmcnt(0)
	v_mul_f32_e32 v10, v22, v15
	v_add3_u32 v68, 0, v6, v24
	v_mul_f32_e32 v6, v2, v15
	v_fma_f32 v73, v2, v14, -v10
	v_mul_f32_e32 v2, v36, v17
	v_fmac_f32_e32 v6, v22, v14
	v_fmac_f32_e32 v2, v32, v16
	v_sub_f32_e32 v2, v66, v2
	v_sub_f32_e32 v74, v6, v46
	v_fma_f32 v10, v66, 2.0, -v2
	v_sub_f32_e32 v76, v73, v70
	v_fma_f32 v6, v6, 2.0, -v74
	v_sub_f32_e32 v6, v10, v6
	v_add_f32_e32 v22, v2, v76
	v_add_u32_e32 v65, 0x600, v64
	v_fma_f32 v10, v10, 2.0, -v6
	v_fma_f32 v2, v2, 2.0, -v22
	ds_write2_b32 v65, v11, v26 offset0:24 offset1:228
	ds_write2_b32 v68, v10, v2 offset1:204
	v_add_u32_e32 v2, 0x600, v68
	ds_write2_b32 v2, v6, v22 offset0:24 offset1:228
	s_waitcnt lgkmcnt(0)
	s_barrier
	ds_read2_b32 v[70:71], v80 offset1:255
	ds_read2_b32 v[66:67], v79 offset1:255
	;; [unrolled: 1-line block ×4, first 2 shown]
	ds_read_b32 v60, v31
	ds_read_b32 v48, v31 offset:5304
	ds_read_b32 v46, v31 offset:8568
	;; [unrolled: 1-line block ×3, first 2 shown]
	ds_read_b32 v40, v50
	ds_read_b32 v6, v49
	ds_read_b32 v42, v31 offset:15096
	v_cmp_gt_u32_e64 s[4:5], 51, v0
                                        ; implicit-def: $vgpr24
                                        ; implicit-def: $vgpr26
                                        ; implicit-def: $vgpr28
                                        ; implicit-def: $vgpr30
	s_and_saveexec_b64 s[10:11], s[4:5]
	s_cbranch_execz .LBB0_12
; %bb.11:
	ds_read_b32 v22, v47
	ds_read_b32 v30, v75 offset:6324
	ds_read_b32 v28, v75 offset:9588
	;; [unrolled: 1-line block ×4, first 2 shown]
.LBB0_12:
	s_or_b64 exec, exec, s[10:11]
	v_mul_f32_e32 v5, v34, v5
	v_fma_f32 v4, v38, v4, -v5
	v_mul_f32_e32 v5, v35, v9
	v_fma_f32 v5, v39, v8, -v5
	v_mul_f32_e32 v8, v32, v17
	v_sub_f32_e32 v5, v51, v5
	v_mul_f32_e32 v13, v23, v13
	v_fma_f32 v8, v36, v16, -v8
	v_fma_f32 v23, v51, 2.0, -v5
	v_fma_f32 v7, v7, 2.0, -v72
	v_fma_f32 v3, v3, v12, -v13
	v_sub_f32_e32 v7, v23, v7
	v_sub_f32_e32 v8, v41, v8
	;; [unrolled: 1-line block ×4, first 2 shown]
	v_fma_f32 v34, v23, 2.0, -v7
	v_fma_f32 v23, v41, 2.0, -v8
	;; [unrolled: 1-line block ×7, first 2 shown]
	v_sub_f32_e32 v36, v23, v36
	v_sub_f32_e32 v12, v9, v12
	;; [unrolled: 1-line block ×4, first 2 shown]
	v_fma_f32 v37, v23, 2.0, -v36
	v_sub_f32_e32 v23, v8, v74
	v_fma_f32 v9, v9, 2.0, -v12
	v_fma_f32 v3, v3, 2.0, -v13
	;; [unrolled: 1-line block ×3, first 2 shown]
	v_sub_f32_e32 v32, v4, v62
	v_sub_f32_e32 v35, v5, v69
	v_fma_f32 v8, v8, 2.0, -v23
	v_fma_f32 v4, v4, 2.0, -v32
	;; [unrolled: 1-line block ×3, first 2 shown]
	s_waitcnt lgkmcnt(0)
	s_barrier
	ds_write2_b32 v57, v9, v3 offset1:204
	ds_write2_b32 v58, v12, v13 offset0:24 offset1:228
	ds_write2_b32 v59, v16, v4 offset1:204
	ds_write2_b32 v61, v17, v32 offset0:24 offset1:228
	;; [unrolled: 2-line block ×4, first 2 shown]
	s_waitcnt lgkmcnt(0)
	s_barrier
	ds_read2_b32 v[72:73], v80 offset1:255
	ds_read2_b32 v[16:17], v79 offset1:255
	;; [unrolled: 1-line block ×4, first 2 shown]
	ds_read_b32 v41, v50
	ds_read_b32 v61, v31
	ds_read_b32 v56, v31 offset:5304
	ds_read_b32 v54, v31 offset:8568
	;; [unrolled: 1-line block ×3, first 2 shown]
	ds_read_b32 v7, v49
	ds_read_b32 v50, v31 offset:15096
                                        ; implicit-def: $vgpr32
                                        ; implicit-def: $vgpr34
                                        ; implicit-def: $vgpr36
                                        ; implicit-def: $vgpr38
	s_and_saveexec_b64 s[10:11], s[4:5]
	s_cbranch_execz .LBB0_14
; %bb.13:
	ds_read_b32 v23, v47
	ds_read_b32 v38, v75 offset:6324
	ds_read_b32 v36, v75 offset:9588
	;; [unrolled: 1-line block ×4, first 2 shown]
.LBB0_14:
	s_or_b64 exec, exec, s[10:11]
	s_load_dwordx2 s[0:1], s[0:1], 0x8
	v_and_b32_e32 v2, 28, v33
	v_lshlrev_b32_e32 v31, 3, v2
	v_or_b32_e32 v37, 16, v1
	global_load_dwordx4 v[2:5], v31, s[18:19] offset:128
	global_load_dwordx4 v[82:85], v31, s[18:19] offset:112
	v_mul_lo_u32 v33, v20, v1
	v_mov_b32_e32 v31, 3
	v_mul_lo_u32 v37, v20, v37
	v_lshlrev_b32_sdwa v35, v31, v33 dst_sel:DWORD dst_unused:UNUSED_PAD src0_sel:DWORD src1_sel:BYTE_0
	v_lshlrev_b32_sdwa v33, v31, v33 dst_sel:DWORD dst_unused:UNUSED_PAD src0_sel:DWORD src1_sel:BYTE_1
	v_lshlrev_b32_sdwa v39, v31, v37 dst_sel:DWORD dst_unused:UNUSED_PAD src0_sel:DWORD src1_sel:BYTE_0
	v_lshlrev_b32_sdwa v37, v31, v37 dst_sel:DWORD dst_unused:UNUSED_PAD src0_sel:DWORD src1_sel:BYTE_1
	s_waitcnt lgkmcnt(0)
	global_load_dwordx2 v[62:63], v35, s[0:1]
	global_load_dwordx2 v[80:81], v33, s[0:1] offset:2048
	global_load_dwordx2 v[58:59], v39, s[0:1]
	global_load_dwordx2 v[86:87], v37, s[0:1] offset:2048
	v_or_b32_e32 v33, 32, v1
	v_or_b32_e32 v37, 48, v1
	v_mul_lo_u32 v33, v20, v33
	v_mul_lo_u32 v37, v20, v37
	v_lshlrev_b32_sdwa v35, v31, v33 dst_sel:DWORD dst_unused:UNUSED_PAD src0_sel:DWORD src1_sel:BYTE_0
	v_lshlrev_b32_sdwa v39, v31, v37 dst_sel:DWORD dst_unused:UNUSED_PAD src0_sel:DWORD src1_sel:BYTE_0
	v_lshlrev_b32_sdwa v37, v31, v37 dst_sel:DWORD dst_unused:UNUSED_PAD src0_sel:DWORD src1_sel:BYTE_1
	v_lshlrev_b32_sdwa v33, v31, v33 dst_sel:DWORD dst_unused:UNUSED_PAD src0_sel:DWORD src1_sel:BYTE_1
	global_load_dwordx2 v[88:89], v35, s[0:1]
	global_load_dwordx2 v[90:91], v33, s[0:1] offset:2048
	global_load_dwordx2 v[92:93], v39, s[0:1]
	global_load_dwordx2 v[94:95], v37, s[0:1] offset:2048
	v_and_b32_e32 v37, 15, v45
	v_or_b32_e32 v33, 64, v1
	v_mul_lo_u32 v39, v20, v37
	v_mul_lo_u32 v33, v20, v33
	v_lshlrev_b32_sdwa v47, v31, v39 dst_sel:DWORD dst_unused:UNUSED_PAD src0_sel:DWORD src1_sel:BYTE_0
	v_lshlrev_b32_sdwa v35, v31, v33 dst_sel:DWORD dst_unused:UNUSED_PAD src0_sel:DWORD src1_sel:BYTE_1
	v_lshlrev_b32_sdwa v33, v31, v33 dst_sel:DWORD dst_unused:UNUSED_PAD src0_sel:DWORD src1_sel:BYTE_0
	v_lshlrev_b32_sdwa v39, v31, v39 dst_sel:DWORD dst_unused:UNUSED_PAD src0_sel:DWORD src1_sel:BYTE_1
	global_load_dwordx2 v[74:75], v47, s[0:1]
	global_load_dwordx2 v[76:77], v39, s[0:1] offset:2048
	global_load_dwordx2 v[96:97], v35, s[0:1] offset:2048
	global_load_dwordx2 v[98:99], v33, s[0:1]
	s_mov_b32 s10, 0x3f737871
	v_and_b32_e32 v33, 60, v27
	s_mov_b32 s20, 0x3f167918
	v_lshlrev_b32_e32 v33, 3, v33
	s_mov_b32 s22, 0x3e9e377a
	v_and_b32_e32 v49, 15, v19
	v_and_b32_e32 v29, 60, v29
	v_lshlrev_b32_e32 v29, 3, v29
	s_andn2_b64 vcc, exec, s[2:3]
	s_waitcnt vmcnt(13)
	v_pk_mul_f32 v[100:101], v[12:13], v[2:3] op_sel_hi:[0,1]
	s_waitcnt vmcnt(12)
	v_pk_mul_f32 v[68:69], v[72:73], v[82:83] op_sel_hi:[0,1]
	v_pk_mul_f32 v[78:79], v[16:17], v[84:85] op_sel_hi:[0,1]
	v_pk_mul_f32 v[102:103], v[8:9], v[4:5] op_sel_hi:[0,1]
	v_pk_fma_f32 v[64:65], v[70:71], v[82:83], v[68:69] op_sel:[0,0,1] op_sel_hi:[1,1,0]
	v_pk_fma_f32 v[82:83], v[70:71], v[82:83], v[68:69] op_sel:[0,0,1] op_sel_hi:[0,1,0] neg_lo:[1,0,0] neg_hi:[1,0,0]
	v_pk_fma_f32 v[68:69], v[66:67], v[84:85], v[78:79] op_sel:[0,0,1] op_sel_hi:[1,1,0]
	v_pk_fma_f32 v[84:85], v[66:67], v[84:85], v[78:79] op_sel:[0,0,1] op_sel_hi:[0,1,0] neg_lo:[1,0,0] neg_hi:[1,0,0]
	;; [unrolled: 2-line block ×4, first 2 shown]
	v_mov_b32_e32 v69, v85
	v_mov_b32_e32 v79, v101
	s_waitcnt vmcnt(10)
	v_pk_mul_f32 v[84:85], v[62:63], v[80:81] op_sel:[1,0] op_sel_hi:[0,1]
	v_mov_b32_e32 v3, v5
	s_waitcnt vmcnt(6)
	v_mul_f32_e32 v12, v89, v91
	v_mov_b32_e32 v4, v81
	s_waitcnt vmcnt(4)
	v_mov_b32_e32 v8, v95
	v_pk_mul_f32 v[100:101], v[92:93], v[94:95] op_sel:[1,0] op_sel_hi:[0,1]
	v_mul_f32_e32 v5, v59, v87
	v_mul_f32_e32 v14, v58, v87
	v_fma_f32 v39, v88, v90, -v12
	v_mov_b32_e32 v12, v85
	v_pk_mul_f32 v[84:85], v[92:93], v[8:9] op_sel:[1,0] op_sel_hi:[0,1]
	v_mov_b32_e32 v8, v101
	v_mul_f32_e32 v16, v88, v91
	s_waitcnt vmcnt(1)
	v_mov_b32_e32 v10, v97
	s_waitcnt vmcnt(0)
	v_pk_mul_f32 v[102:103], v[98:99], v[96:97] op_sel:[1,0] op_sel_hi:[0,1]
	v_fma_f32 v35, v58, v86, -v5
	v_fmac_f32_e32 v14, v59, v86
	v_pk_mul_f32 v[4:5], v[62:63], v[4:5] op_sel:[1,0] op_sel_hi:[0,1]
	v_pk_fma_f32 v[86:87], v[92:93], v[94:95], v[8:9] op_sel:[1,0,0] op_sel_hi:[0,1,1]
	v_or_b32_e32 v8, 16, v37
	v_fmac_f32_e32 v16, v89, v90
	v_pk_mul_f32 v[88:89], v[98:99], v[10:11] op_sel:[1,0] op_sel_hi:[0,1]
	v_mov_b32_e32 v10, v103
	v_pk_fma_f32 v[58:59], v[62:63], v[80:81], v[4:5] neg_lo:[0,0,1] neg_hi:[0,0,1]
	v_pk_fma_f32 v[62:63], v[62:63], v[80:81], v[12:13] op_sel:[1,0,0] op_sel_hi:[0,1,1]
	v_mul_lo_u32 v8, v20, v8
	v_or_b32_e32 v12, 32, v37
	v_pk_add_f32 v[104:105], v[68:69], v[78:79]
	v_pk_fma_f32 v[80:81], v[98:99], v[96:97], v[10:11] op_sel:[1,0,0] op_sel_hi:[0,1,1]
	v_lshlrev_b32_sdwa v10, v31, v8 dst_sel:DWORD dst_unused:UNUSED_PAD src0_sel:DWORD src1_sel:BYTE_0
	v_lshlrev_b32_sdwa v8, v31, v8 dst_sel:DWORD dst_unused:UNUSED_PAD src0_sel:DWORD src1_sel:BYTE_1
	v_mul_lo_u32 v12, v20, v12
	v_pk_fma_f32 v[90:91], v[104:105], 0.5, v[60:61] op_sel_hi:[1,0,1] neg_lo:[1,0,0] neg_hi:[1,0,0]
	v_lshlrev_b32_sdwa v47, v31, v12 dst_sel:DWORD dst_unused:UNUSED_PAD src0_sel:DWORD src1_sel:BYTE_0
	v_lshlrev_b32_sdwa v12, v31, v12 dst_sel:DWORD dst_unused:UNUSED_PAD src0_sel:DWORD src1_sel:BYTE_1
	global_load_dwordx2 v[100:101], v10, s[0:1]
	global_load_dwordx2 v[102:103], v8, s[0:1] offset:2048
	global_load_dwordx2 v[104:105], v47, s[0:1]
	global_load_dwordx2 v[106:107], v12, s[0:1] offset:2048
	v_or_b32_e32 v8, 48, v37
	v_mul_lo_u32 v8, v20, v8
	v_lshlrev_b32_sdwa v10, v31, v8 dst_sel:DWORD dst_unused:UNUSED_PAD src0_sel:DWORD src1_sel:BYTE_0
	v_lshlrev_b32_sdwa v8, v31, v8 dst_sel:DWORD dst_unused:UNUSED_PAD src0_sel:DWORD src1_sel:BYTE_1
	global_load_dwordx2 v[108:109], v10, s[0:1]
	global_load_dwordx2 v[110:111], v8, s[0:1] offset:2048
	v_or_b32_e32 v8, 64, v37
	v_mul_lo_u32 v8, v20, v8
	v_mov_b32_e32 v65, v83
	v_lshlrev_b32_sdwa v10, v31, v8 dst_sel:DWORD dst_unused:UNUSED_PAD src0_sel:DWORD src1_sel:BYTE_0
	v_pk_add_f32 v[82:83], v[64:65], v[2:3] neg_lo:[0,1] neg_hi:[0,1]
	v_lshlrev_b32_sdwa v8, v31, v8 dst_sel:DWORD dst_unused:UNUSED_PAD src0_sel:DWORD src1_sel:BYTE_1
	global_load_dwordx2 v[112:113], v10, s[0:1]
	global_load_dwordx2 v[114:115], v8, s[0:1] offset:2048
	v_pk_fma_f32 v[84:85], v[92:93], v[94:95], v[84:85] neg_lo:[0,0,1] neg_hi:[0,0,1]
	v_pk_fma_f32 v[4:5], v[98:99], v[96:97], v[88:89] neg_lo:[0,0,1] neg_hi:[0,0,1]
	v_pk_fma_f32 v[92:93], v[82:83], s[10:11], v[90:91] op_sel:[1,0,0] op_sel_hi:[0,0,1] neg_lo:[1,0,0] neg_hi:[1,0,0]
	v_pk_add_f32 v[88:89], v[68:69], v[78:79] neg_lo:[0,1] neg_hi:[0,1]
	v_pk_add_f32 v[94:95], v[2:3], v[78:79] neg_lo:[0,1] neg_hi:[0,1]
	v_pk_fma_f32 v[98:99], v[88:89], s[20:21], v[92:93] op_sel:[1,0,0] op_sel_hi:[0,0,1] neg_lo:[1,0,0] neg_hi:[1,0,0]
	v_pk_add_f32 v[92:93], v[64:65], v[68:69] neg_lo:[0,1] neg_hi:[0,1]
	v_pk_mul_f32 v[96:97], v[88:89], s[20:21] op_sel:[1,0] op_sel_hi:[0,0]
	v_pk_add_f32 v[116:117], v[92:93], v[94:95]
	global_load_dwordx4 v[92:95], v33, s[18:19] offset:112
	v_pk_fma_f32 v[90:91], v[82:83], s[10:11], v[90:91] op_sel:[1,0,0] op_sel_hi:[0,0,1]
	v_add_f32_e32 v8, v97, v91
	v_pk_add_f32 v[96:97], v[60:61], v[64:65]
	v_pk_fma_f32 v[90:91], v[88:89], s[20:21], v[90:91] op_sel:[1,0,0] op_sel_hi:[0,0,1]
	v_pk_add_f32 v[96:97], v[96:97], v[68:69]
	v_pk_mul_f32 v[118:119], v[116:117], s[22:23] op_sel_hi:[1,0]
	v_mov_b32_e32 v91, v99
	v_pk_add_f32 v[96:97], v[96:97], v[78:79]
	v_add_f32_e32 v10, v118, v98
	v_pk_fma_f32 v[90:91], v[116:117], s[22:23], v[90:91] op_sel_hi:[1,0,1]
	v_pk_add_f32 v[116:117], v[96:97], v[2:3]
	global_load_dwordx4 v[96:99], v33, s[18:19] offset:128
	v_add_f32_e32 v8, v119, v8
	v_pk_mul_f32 v[118:119], v[116:117], v[62:63] op_sel_hi:[1,0]
	s_waitcnt vmcnt(8)
	v_mul_f32_e32 v37, v100, v103
	v_pk_fma_f32 v[62:63], v[116:117], v[58:59], v[118:119] op_sel:[0,0,1] op_sel_hi:[1,1,0]
	v_pk_fma_f32 v[58:59], v[116:117], v[58:59], v[118:119] op_sel:[0,0,1] op_sel_hi:[1,0,0] neg_lo:[0,0,1] neg_hi:[0,0,1]
	v_pk_add_f32 v[116:117], v[64:65], v[2:3]
	v_mul_f32_e32 v58, v8, v14
	v_pk_fma_f32 v[60:61], v[116:117], 0.5, v[60:61] op_sel_hi:[1,0,1] neg_lo:[1,0,0] neg_hi:[1,0,0]
	v_fmac_f32_e32 v58, v10, v35
	v_mul_f32_e32 v10, v10, v14
	v_pk_fma_f32 v[116:117], v[88:89], s[10:11], v[60:61] op_sel:[1,0,0] op_sel_hi:[0,0,1]
	v_pk_mul_f32 v[118:119], v[82:83], s[20:21] op_sel:[1,0] op_sel_hi:[0,0]
	v_pk_fma_f32 v[60:61], v[88:89], s[10:11], v[60:61] op_sel:[1,0,0] op_sel_hi:[0,0,1] neg_lo:[1,0,0] neg_hi:[1,0,0]
	v_mov_b32_e32 v63, v59
	v_fma_f32 v59, v8, v35, -v10
	v_pk_fma_f32 v[116:117], v[82:83], s[20:21], v[116:117] op_sel:[1,0,0] op_sel_hi:[0,0,1] neg_lo:[1,0,0] neg_hi:[1,0,0]
	v_pk_add_f32 v[64:65], v[68:69], v[64:65] neg_lo:[0,1] neg_hi:[0,1]
	v_pk_add_f32 v[2:3], v[78:79], v[2:3] neg_lo:[0,1] neg_hi:[0,1]
	v_add_f32_e32 v8, v119, v61
	v_pk_fma_f32 v[60:61], v[82:83], s[20:21], v[60:61] op_sel:[1,0,0] op_sel_hi:[0,0,1]
	v_pk_add_f32 v[2:3], v[64:65], v[2:3]
	v_mov_b32_e32 v61, v117
	v_pk_fma_f32 v[64:65], v[2:3], s[22:23], v[60:61] op_sel_hi:[1,0,1]
	v_pk_mul_f32 v[2:3], v[2:3], s[22:23] op_sel_hi:[1,0]
	v_pk_mul_f32 v[68:69], v[64:65], v[86:87] op_sel_hi:[1,0]
	v_add_f32_e32 v3, v3, v8
	v_pk_fma_f32 v[60:61], v[64:65], v[84:85], v[68:69] op_sel:[0,0,1] op_sel_hi:[1,1,0]
	v_pk_fma_f32 v[64:65], v[64:65], v[84:85], v[68:69] op_sel:[0,0,1] op_sel_hi:[1,0,0] neg_lo:[0,0,1] neg_hi:[0,0,1]
	v_add_f32_e32 v2, v2, v116
	v_mul_f32_e32 v68, v3, v16
	v_mul_f32_e32 v8, v2, v16
	v_fmac_f32_e32 v68, v2, v39
	v_and_b32_e32 v2, 60, v25
	v_fma_f32 v69, v3, v39, -v8
	v_lshlrev_b32_e32 v33, 3, v2
	v_pk_mul_f32 v[2:3], v[90:91], v[80:81] op_sel_hi:[1,0]
	v_mov_b32_e32 v61, v65
	v_pk_fma_f32 v[64:65], v[90:91], v[4:5], v[2:3] op_sel:[0,0,1] op_sel_hi:[1,1,0]
	v_pk_fma_f32 v[2:3], v[90:91], v[4:5], v[2:3] op_sel:[0,0,1] op_sel_hi:[1,0,0] neg_lo:[0,0,1] neg_hi:[0,0,1]
	v_mov_b32_e32 v10, v11
	v_mov_b32_e32 v2, v77
	v_mov_b32_e32 v65, v3
	v_pk_mul_f32 v[2:3], v[74:75], v[2:3] op_sel:[1,0] op_sel_hi:[0,1]
	v_pk_fma_f32 v[78:79], v[74:75], v[76:77], v[2:3] neg_lo:[0,0,1] neg_hi:[0,0,1]
	v_pk_mul_f32 v[2:3], v[74:75], v[76:77] op_sel:[1,0] op_sel_hi:[0,1]
	v_mov_b32_e32 v2, v3
	v_pk_fma_f32 v[80:81], v[74:75], v[76:77], v[2:3] op_sel:[1,0,0] op_sel_hi:[0,1,1]
	s_waitcnt vmcnt(2)
	v_pk_mul_f32 v[76:77], v[112:113], v[114:115] op_sel:[1,0] op_sel_hi:[0,1]
	v_mov_b32_e32 v8, v77
	v_pk_fma_f32 v[76:77], v[112:113], v[114:115], v[8:9] op_sel:[1,0,0] op_sel_hi:[0,1,1]
	v_mov_b32_e32 v8, v73
	s_waitcnt vmcnt(1)
	v_pk_mul_f32 v[72:73], v[8:9], v[92:93] op_sel_hi:[0,1]
	v_mov_b32_e32 v8, v71
	v_pk_fma_f32 v[82:83], v[8:9], v[92:93], v[72:73] op_sel:[0,0,1] op_sel_hi:[1,1,0]
	v_pk_fma_f32 v[70:71], v[8:9], v[92:93], v[72:73] op_sel:[0,0,1] op_sel_hi:[0,1,0] neg_lo:[1,0,0] neg_hi:[1,0,0]
	v_mov_b32_e32 v8, v17
	v_pk_mul_f32 v[16:17], v[8:9], v[94:95] op_sel_hi:[0,1]
	v_mov_b32_e32 v8, v67
	v_pk_fma_f32 v[72:73], v[8:9], v[94:95], v[16:17] op_sel:[0,0,1] op_sel_hi:[1,1,0]
	v_pk_fma_f32 v[16:17], v[8:9], v[94:95], v[16:17] op_sel:[0,0,1] op_sel_hi:[0,1,0] neg_lo:[1,0,0] neg_hi:[1,0,0]
	v_mov_b32_e32 v8, v13
	s_waitcnt vmcnt(0)
	v_pk_mul_f32 v[12:13], v[8:9], v[96:97] op_sel_hi:[0,1]
	v_mov_b32_e32 v8, v15
	v_mov_b32_e32 v73, v17
	v_pk_fma_f32 v[16:17], v[8:9], v[96:97], v[12:13] op_sel:[0,0,1] op_sel_hi:[1,1,0]
	v_pk_fma_f32 v[12:13], v[8:9], v[96:97], v[12:13] op_sel:[0,0,1] op_sel_hi:[0,1,0] neg_lo:[1,0,0] neg_hi:[1,0,0]
	v_mov_b32_e32 v8, v9
	v_pk_mul_f32 v[8:9], v[8:9], v[98:99] op_sel_hi:[0,1]
	v_mul_f32_e32 v2, v101, v103
	v_mov_b32_e32 v17, v13
	v_pk_fma_f32 v[12:13], v[10:11], v[98:99], v[8:9] op_sel:[0,0,1] op_sel_hi:[1,1,0]
	v_pk_fma_f32 v[8:9], v[10:11], v[98:99], v[8:9] op_sel:[0,0,1] op_sel_hi:[0,1,0] neg_lo:[1,0,0] neg_hi:[1,0,0]
	v_mul_lo_u32 v10, v20, v49
	v_or_b32_e32 v14, 16, v49
	v_fma_f32 v35, v100, v102, -v2
	v_mul_f32_e32 v2, v105, v107
	v_lshlrev_b32_sdwa v11, v31, v10 dst_sel:DWORD dst_unused:UNUSED_PAD src0_sel:DWORD src1_sel:BYTE_0
	v_lshlrev_b32_sdwa v10, v31, v10 dst_sel:DWORD dst_unused:UNUSED_PAD src0_sel:DWORD src1_sel:BYTE_1
	v_mul_lo_u32 v14, v20, v14
	v_fma_f32 v39, v104, v106, -v2
	v_mov_b32_e32 v2, v111
	v_lshlrev_b32_sdwa v15, v31, v14 dst_sel:DWORD dst_unused:UNUSED_PAD src0_sel:DWORD src1_sel:BYTE_0
	v_lshlrev_b32_sdwa v14, v31, v14 dst_sel:DWORD dst_unused:UNUSED_PAD src0_sel:DWORD src1_sel:BYTE_1
	global_load_dwordx2 v[86:87], v11, s[0:1]
	global_load_dwordx2 v[88:89], v10, s[0:1] offset:2048
	global_load_dwordx2 v[90:91], v15, s[0:1]
	global_load_dwordx2 v[92:93], v14, s[0:1] offset:2048
	v_or_b32_e32 v10, 32, v49
	v_pk_mul_f32 v[2:3], v[108:109], v[2:3] op_sel:[1,0] op_sel_hi:[0,1]
	v_mul_lo_u32 v10, v20, v10
	v_or_b32_e32 v14, 48, v49
	v_pk_fma_f32 v[4:5], v[108:109], v[110:111], v[2:3] neg_lo:[0,0,1] neg_hi:[0,0,1]
	v_pk_mul_f32 v[2:3], v[108:109], v[110:111] op_sel:[1,0] op_sel_hi:[0,1]
	v_lshlrev_b32_sdwa v11, v31, v10 dst_sel:DWORD dst_unused:UNUSED_PAD src0_sel:DWORD src1_sel:BYTE_0
	v_lshlrev_b32_sdwa v10, v31, v10 dst_sel:DWORD dst_unused:UNUSED_PAD src0_sel:DWORD src1_sel:BYTE_1
	v_mul_lo_u32 v14, v20, v14
	v_mul_f32_e32 v47, v104, v107
	v_mov_b32_e32 v2, v3
	global_load_dwordx2 v[94:95], v11, s[0:1]
	global_load_dwordx2 v[96:97], v10, s[0:1] offset:2048
	v_lshlrev_b32_sdwa v10, v31, v14 dst_sel:DWORD dst_unused:UNUSED_PAD src0_sel:DWORD src1_sel:BYTE_0
	v_fmac_f32_e32 v47, v105, v106
	v_pk_fma_f32 v[74:75], v[108:109], v[110:111], v[2:3] op_sel:[1,0,0] op_sel_hi:[0,1,1]
	v_lshlrev_b32_sdwa v11, v31, v14 dst_sel:DWORD dst_unused:UNUSED_PAD src0_sel:DWORD src1_sel:BYTE_1
	global_load_dwordx2 v[104:105], v10, s[0:1]
	global_load_dwordx2 v[108:109], v11, s[0:1] offset:2048
	v_or_b32_e32 v49, 64, v49
	v_mul_lo_u32 v49, v20, v49
	v_lshlrev_b32_sdwa v51, v31, v49 dst_sel:DWORD dst_unused:UNUSED_PAD src0_sel:DWORD src1_sel:BYTE_0
	v_fmac_f32_e32 v37, v101, v102
	v_lshlrev_b32_sdwa v49, v31, v49 dst_sel:DWORD dst_unused:UNUSED_PAD src0_sel:DWORD src1_sel:BYTE_1
	global_load_dwordx2 v[98:99], v51, s[0:1]
	global_load_dwordx2 v[100:101], v49, s[0:1] offset:2048
	v_mov_b32_e32 v83, v71
	v_mov_b32_e32 v13, v9
	v_pk_add_f32 v[8:9], v[72:73], v[16:17]
	v_pk_add_f32 v[84:85], v[82:83], v[12:13] neg_lo:[0,1] neg_hi:[0,1]
	v_pk_fma_f32 v[8:9], v[8:9], 0.5, v[6:7] op_sel_hi:[1,0,1] neg_lo:[1,0,0] neg_hi:[1,0,0]
	v_pk_add_f32 v[70:71], v[82:83], v[72:73] neg_lo:[0,1] neg_hi:[0,1]
	v_pk_add_f32 v[102:103], v[12:13], v[16:17] neg_lo:[0,1] neg_hi:[0,1]
	v_pk_fma_f32 v[10:11], v[84:85], s[10:11], v[8:9] op_sel:[1,0,0] op_sel_hi:[0,0,1] neg_lo:[1,0,0] neg_hi:[1,0,0]
	v_pk_add_f32 v[14:15], v[72:73], v[16:17] neg_lo:[0,1] neg_hi:[0,1]
	v_pk_add_f32 v[70:71], v[70:71], v[102:103]
	v_pk_mul_f32 v[66:67], v[14:15], s[20:21] op_sel:[1,0] op_sel_hi:[0,0]
	v_pk_fma_f32 v[10:11], v[14:15], s[20:21], v[10:11] op_sel:[1,0,0] op_sel_hi:[0,0,1] neg_lo:[1,0,0] neg_hi:[1,0,0]
	v_pk_mul_f32 v[102:103], v[70:71], s[22:23] op_sel_hi:[1,0]
	v_pk_fma_f32 v[8:9], v[84:85], s[10:11], v[8:9] op_sel:[1,0,0] op_sel_hi:[0,0,1]
	v_add_f32_e32 v49, v102, v10
	v_add_f32_e32 v10, v67, v9
	v_pk_fma_f32 v[8:9], v[14:15], s[20:21], v[8:9] op_sel:[1,0,0] op_sel_hi:[0,0,1]
	v_add_f32_e32 v51, v103, v10
	v_mov_b32_e32 v9, v11
	v_pk_add_f32 v[10:11], v[6:7], v[82:83]
	v_pk_fma_f32 v[8:9], v[70:71], s[22:23], v[8:9] op_sel_hi:[1,0,1]
	v_pk_add_f32 v[10:11], v[10:11], v[72:73]
	v_pk_add_f32 v[72:73], v[72:73], v[82:83] neg_lo:[0,1] neg_hi:[0,1]
	v_pk_add_f32 v[10:11], v[10:11], v[16:17]
	v_mov_b32_e32 v2, v115
	v_pk_add_f32 v[10:11], v[10:11], v[12:13]
	v_pk_mul_f32 v[2:3], v[112:113], v[2:3] op_sel:[1,0] op_sel_hi:[0,1]
	v_pk_mul_f32 v[66:67], v[10:11], v[80:81] op_sel_hi:[1,0]
	v_pk_fma_f32 v[2:3], v[112:113], v[114:115], v[2:3] neg_lo:[0,0,1] neg_hi:[0,0,1]
	v_pk_fma_f32 v[70:71], v[10:11], v[78:79], v[66:67] op_sel:[0,0,1] op_sel_hi:[1,1,0]
	v_pk_fma_f32 v[10:11], v[10:11], v[78:79], v[66:67] op_sel:[0,0,1] op_sel_hi:[1,0,0] neg_lo:[0,0,1] neg_hi:[0,0,1]
	v_mul_f32_e32 v66, v51, v37
	v_mul_f32_e32 v10, v49, v37
	v_mov_b32_e32 v71, v11
	v_fma_f32 v67, v51, v35, -v10
	v_pk_add_f32 v[10:11], v[82:83], v[12:13]
	v_pk_add_f32 v[12:13], v[16:17], v[12:13] neg_lo:[0,1] neg_hi:[0,1]
	v_pk_fma_f32 v[6:7], v[10:11], 0.5, v[6:7] op_sel_hi:[1,0,1] neg_lo:[1,0,0] neg_hi:[1,0,0]
	v_pk_add_f32 v[72:73], v[72:73], v[12:13]
	v_pk_fma_f32 v[10:11], v[14:15], s[10:11], v[6:7] op_sel:[1,0,0] op_sel_hi:[0,0,1]
	v_pk_mul_f32 v[16:17], v[84:85], s[20:21] op_sel:[1,0] op_sel_hi:[0,0]
	v_pk_fma_f32 v[78:79], v[84:85], s[20:21], v[10:11] op_sel:[1,0,0] op_sel_hi:[0,0,1] neg_lo:[1,0,0] neg_hi:[1,0,0]
	v_pk_fma_f32 v[6:7], v[14:15], s[10:11], v[6:7] op_sel:[1,0,0] op_sel_hi:[0,0,1] neg_lo:[1,0,0] neg_hi:[1,0,0]
	v_pk_mul_f32 v[14:15], v[72:73], s[22:23] op_sel_hi:[1,0]
	v_fmac_f32_e32 v66, v49, v35
	v_add_f32_e32 v35, v14, v78
	v_add_f32_e32 v14, v17, v7
	v_pk_fma_f32 v[6:7], v[84:85], s[20:21], v[6:7] op_sel:[1,0,0] op_sel_hi:[0,0,1]
	v_mov_b32_e32 v7, v79
	v_pk_fma_f32 v[6:7], v[72:73], s[22:23], v[6:7] op_sel_hi:[1,0,1]
	global_load_dwordx4 v[10:13], v33, s[18:19] offset:112
	v_pk_mul_f32 v[78:79], v[6:7], v[74:75] op_sel_hi:[1,0]
	v_add_f32_e32 v37, v15, v14
	global_load_dwordx4 v[14:17], v33, s[18:19] offset:128
	v_pk_fma_f32 v[74:75], v[6:7], v[4:5], v[78:79] op_sel:[0,0,1] op_sel_hi:[1,1,0]
	v_pk_fma_f32 v[4:5], v[6:7], v[4:5], v[78:79] op_sel:[0,0,1] op_sel_hi:[1,0,0] neg_lo:[0,0,1] neg_hi:[0,0,1]
	v_mul_f32_e32 v33, v35, v47
	v_mov_b32_e32 v75, v5
	v_pk_mul_f32 v[4:5], v[8:9], v[76:77] op_sel_hi:[1,0]
	v_fma_f32 v73, v37, v39, -v33
	v_pk_fma_f32 v[76:77], v[8:9], v[2:3], v[4:5] op_sel:[0,0,1] op_sel_hi:[1,1,0]
	v_pk_fma_f32 v[2:3], v[8:9], v[2:3], v[4:5] op_sel:[0,0,1] op_sel_hi:[1,0,0] neg_lo:[0,0,1] neg_hi:[0,0,1]
	v_mul_f32_e32 v72, v37, v47
	s_waitcnt vmcnt(10)
	v_mov_b32_e32 v2, v89
	v_mov_b32_e32 v77, v3
	v_pk_mul_f32 v[2:3], v[86:87], v[2:3] op_sel:[1,0] op_sel_hi:[0,1]
	v_pk_fma_f32 v[106:107], v[86:87], v[88:89], v[2:3] neg_lo:[0,0,1] neg_hi:[0,0,1]
	v_pk_mul_f32 v[2:3], v[86:87], v[88:89] op_sel:[1,0] op_sel_hi:[0,1]
	v_mov_b32_e32 v2, v3
	v_pk_fma_f32 v[110:111], v[86:87], v[88:89], v[2:3] op_sel:[1,0,0] op_sel_hi:[0,1,1]
	s_waitcnt vmcnt(8)
	v_mul_f32_e32 v2, v91, v93
	v_fma_f32 v33, v90, v92, -v2
	s_waitcnt vmcnt(6)
	v_mul_f32_e32 v2, v95, v97
	v_fma_f32 v37, v94, v96, -v2
	s_waitcnt vmcnt(4)
	v_mov_b32_e32 v2, v109
	v_pk_mul_f32 v[2:3], v[104:105], v[2:3] op_sel:[1,0] op_sel_hi:[0,1]
	v_pk_fma_f32 v[102:103], v[104:105], v[108:109], v[2:3] neg_lo:[0,0,1] neg_hi:[0,0,1]
	v_pk_mul_f32 v[2:3], v[104:105], v[108:109] op_sel:[1,0] op_sel_hi:[0,1]
	v_mov_b32_e32 v2, v3
	v_and_b32_e32 v4, 15, v43
	v_pk_fma_f32 v[104:105], v[104:105], v[108:109], v[2:3] op_sel:[1,0,0] op_sel_hi:[0,1,1]
	v_mul_lo_u32 v2, v20, v4
	v_lshlrev_b32_sdwa v3, v31, v2 dst_sel:DWORD dst_unused:UNUSED_PAD src0_sel:DWORD src1_sel:BYTE_0
	v_lshlrev_b32_sdwa v2, v31, v2 dst_sel:DWORD dst_unused:UNUSED_PAD src0_sel:DWORD src1_sel:BYTE_1
	global_load_dwordx2 v[78:79], v3, s[0:1]
	global_load_dwordx2 v[80:81], v2, s[0:1] offset:2048
	s_waitcnt vmcnt(4)
	v_mov_b32_e32 v2, v101
	v_pk_mul_f32 v[2:3], v[98:99], v[2:3] op_sel:[1,0] op_sel_hi:[0,1]
	v_pk_fma_f32 v[108:109], v[98:99], v[100:101], v[2:3] neg_lo:[0,0,1] neg_hi:[0,0,1]
	v_or_b32_e32 v2, 16, v4
	v_mul_lo_u32 v2, v20, v2
	v_or_b32_e32 v5, 32, v4
	v_lshlrev_b32_sdwa v3, v31, v2 dst_sel:DWORD dst_unused:UNUSED_PAD src0_sel:DWORD src1_sel:BYTE_0
	v_lshlrev_b32_sdwa v2, v31, v2 dst_sel:DWORD dst_unused:UNUSED_PAD src0_sel:DWORD src1_sel:BYTE_1
	v_mul_lo_u32 v5, v20, v5
	v_lshlrev_b32_sdwa v6, v31, v5 dst_sel:DWORD dst_unused:UNUSED_PAD src0_sel:DWORD src1_sel:BYTE_0
	v_lshlrev_b32_sdwa v5, v31, v5 dst_sel:DWORD dst_unused:UNUSED_PAD src0_sel:DWORD src1_sel:BYTE_1
	global_load_dwordx2 v[86:87], v3, s[0:1]
	global_load_dwordx2 v[88:89], v2, s[0:1] offset:2048
	global_load_dwordx2 v[82:83], v6, s[0:1]
	global_load_dwordx2 v[84:85], v5, s[0:1] offset:2048
	v_or_b32_e32 v2, 48, v4
	v_mul_lo_u32 v2, v20, v2
	v_lshlrev_b32_sdwa v43, v31, v2 dst_sel:DWORD dst_unused:UNUSED_PAD src0_sel:DWORD src1_sel:BYTE_0
	v_lshlrev_b32_sdwa v47, v31, v2 dst_sel:DWORD dst_unused:UNUSED_PAD src0_sel:DWORD src1_sel:BYTE_1
	v_or_b32_e32 v2, 64, v4
	v_fmac_f32_e32 v72, v35, v39
	v_mul_f32_e32 v35, v90, v93
	v_mul_f32_e32 v39, v94, v97
	v_mul_lo_u32 v2, v20, v2
	v_fmac_f32_e32 v35, v91, v92
	v_fmac_f32_e32 v39, v95, v96
	v_lshlrev_b32_sdwa v49, v31, v2 dst_sel:DWORD dst_unused:UNUSED_PAD src0_sel:DWORD src1_sel:BYTE_0
	v_lshlrev_b32_sdwa v31, v31, v2 dst_sel:DWORD dst_unused:UNUSED_PAD src0_sel:DWORD src1_sel:BYTE_1
	global_load_dwordx2 v[94:95], v43, s[0:1]
	global_load_dwordx2 v[96:97], v47, s[0:1] offset:2048
	global_load_dwordx2 v[90:91], v49, s[0:1]
	global_load_dwordx2 v[92:93], v31, s[0:1] offset:2048
	global_load_dwordx4 v[2:5], v29, s[18:19] offset:128
	global_load_dwordx4 v[6:9], v29, s[18:19] offset:112
	v_pk_mul_f32 v[112:113], v[98:99], v[100:101] op_sel:[1,0] op_sel_hi:[0,1]
	v_mov_b32_e32 v112, v113
	v_pk_fma_f32 v[98:99], v[98:99], v[100:101], v[112:113] op_sel:[1,0,0] op_sel_hi:[0,1,1]
	s_waitcnt vmcnt(13)
	v_pk_mul_f32 v[56:57], v[56:57], v[10:11] op_sel_hi:[0,1]
	v_pk_fma_f32 v[100:101], v[48:49], v[10:11], v[56:57] op_sel:[0,0,1] op_sel_hi:[1,1,0]
	v_pk_fma_f32 v[10:11], v[48:49], v[10:11], v[56:57] op_sel:[0,0,1] op_sel_hi:[0,1,0] neg_lo:[1,0,0] neg_hi:[1,0,0]
	v_mov_b32_e32 v101, v11
	v_pk_mul_f32 v[10:11], v[54:55], v[12:13] op_sel_hi:[0,1]
	v_pk_fma_f32 v[48:49], v[46:47], v[12:13], v[10:11] op_sel:[0,0,1] op_sel_hi:[1,1,0]
	v_pk_fma_f32 v[10:11], v[46:47], v[12:13], v[10:11] op_sel:[0,0,1] op_sel_hi:[0,1,0] neg_lo:[1,0,0] neg_hi:[1,0,0]
	v_mov_b32_e32 v49, v11
	s_waitcnt vmcnt(12)
	v_pk_mul_f32 v[10:11], v[52:53], v[14:15] op_sel_hi:[0,1]
	v_pk_fma_f32 v[46:47], v[44:45], v[14:15], v[10:11] op_sel:[0,0,1] op_sel_hi:[1,1,0]
	v_pk_fma_f32 v[10:11], v[44:45], v[14:15], v[10:11] op_sel:[0,0,1] op_sel_hi:[0,1,0] neg_lo:[1,0,0] neg_hi:[1,0,0]
	v_mov_b32_e32 v47, v11
	v_pk_mul_f32 v[10:11], v[50:51], v[16:17] op_sel_hi:[0,1]
	v_pk_fma_f32 v[50:51], v[42:43], v[16:17], v[10:11] op_sel:[0,0,1] op_sel_hi:[1,1,0]
	v_pk_fma_f32 v[10:11], v[42:43], v[16:17], v[10:11] op_sel:[0,0,1] op_sel_hi:[0,1,0] neg_lo:[1,0,0] neg_hi:[1,0,0]
	v_mov_b32_e32 v51, v11
	v_pk_add_f32 v[10:11], v[48:49], v[46:47]
	v_pk_add_f32 v[16:17], v[100:101], v[50:51] neg_lo:[0,1] neg_hi:[0,1]
	v_pk_fma_f32 v[10:11], v[10:11], 0.5, v[40:41] op_sel_hi:[1,0,1] neg_lo:[1,0,0] neg_hi:[1,0,0]
	v_pk_add_f32 v[52:53], v[100:101], v[48:49] neg_lo:[0,1] neg_hi:[0,1]
	v_pk_add_f32 v[54:55], v[50:51], v[46:47] neg_lo:[0,1] neg_hi:[0,1]
	v_pk_fma_f32 v[12:13], v[16:17], s[10:11], v[10:11] op_sel:[1,0,0] op_sel_hi:[0,0,1] neg_lo:[1,0,0] neg_hi:[1,0,0]
	v_pk_add_f32 v[42:43], v[48:49], v[46:47] neg_lo:[0,1] neg_hi:[0,1]
	v_pk_add_f32 v[52:53], v[52:53], v[54:55]
	v_pk_mul_f32 v[14:15], v[42:43], s[20:21] op_sel:[1,0] op_sel_hi:[0,0]
	v_pk_fma_f32 v[12:13], v[42:43], s[20:21], v[12:13] op_sel:[1,0,0] op_sel_hi:[0,0,1] neg_lo:[1,0,0] neg_hi:[1,0,0]
	v_pk_mul_f32 v[54:55], v[52:53], s[22:23] op_sel_hi:[1,0]
	v_pk_fma_f32 v[10:11], v[16:17], s[10:11], v[10:11] op_sel:[1,0,0] op_sel_hi:[0,0,1]
	v_add_f32_e32 v29, v54, v12
	v_add_f32_e32 v12, v15, v11
	v_pk_fma_f32 v[10:11], v[42:43], s[20:21], v[10:11] op_sel:[1,0,0] op_sel_hi:[0,0,1]
	v_add_f32_e32 v31, v55, v12
	v_mov_b32_e32 v11, v13
	v_pk_add_f32 v[12:13], v[40:41], v[100:101]
	v_pk_fma_f32 v[10:11], v[52:53], s[22:23], v[10:11] op_sel_hi:[1,0,1]
	v_pk_add_f32 v[12:13], v[12:13], v[48:49]
	v_pk_add_f32 v[52:53], v[100:101], v[50:51]
	;; [unrolled: 1-line block ×3, first 2 shown]
	v_pk_fma_f32 v[40:41], v[52:53], 0.5, v[40:41] op_sel_hi:[1,0,1] neg_lo:[1,0,0] neg_hi:[1,0,0]
	v_pk_add_f32 v[12:13], v[12:13], v[50:51]
	v_pk_fma_f32 v[52:53], v[42:43], s[10:11], v[40:41] op_sel:[1,0,0] op_sel_hi:[0,0,1]
	v_pk_mul_f32 v[54:55], v[12:13], v[110:111] op_sel_hi:[1,0]
	v_pk_fma_f32 v[40:41], v[42:43], s[10:11], v[40:41] op_sel:[1,0,0] op_sel_hi:[0,0,1] neg_lo:[1,0,0] neg_hi:[1,0,0]
	v_pk_fma_f32 v[14:15], v[12:13], v[106:107], v[54:55] op_sel:[0,0,1] op_sel_hi:[1,1,0]
	v_pk_fma_f32 v[12:13], v[12:13], v[106:107], v[54:55] op_sel:[0,0,1] op_sel_hi:[1,0,0] neg_lo:[0,0,1] neg_hi:[0,0,1]
	v_pk_mul_f32 v[54:55], v[16:17], s[20:21] op_sel:[1,0] op_sel_hi:[0,0]
	v_pk_fma_f32 v[52:53], v[16:17], s[20:21], v[52:53] op_sel:[1,0,0] op_sel_hi:[0,0,1] neg_lo:[1,0,0] neg_hi:[1,0,0]
	v_pk_add_f32 v[48:49], v[48:49], v[100:101] neg_lo:[0,1] neg_hi:[0,1]
	v_pk_add_f32 v[46:47], v[46:47], v[50:51] neg_lo:[0,1] neg_hi:[0,1]
	v_pk_fma_f32 v[16:17], v[16:17], s[20:21], v[40:41] op_sel:[1,0,0] op_sel_hi:[0,0,1]
	v_mov_b32_e32 v15, v13
	v_mul_f32_e32 v13, v29, v35
	v_pk_add_f32 v[46:47], v[48:49], v[46:47]
	v_mov_b32_e32 v17, v53
	v_mul_f32_e32 v12, v31, v35
	v_fma_f32 v13, v31, v33, -v13
	v_pk_mul_f32 v[48:49], v[46:47], s[22:23] op_sel_hi:[1,0]
	v_add_f32_e32 v31, v55, v41
	v_pk_fma_f32 v[16:17], v[46:47], s[22:23], v[16:17] op_sel_hi:[1,0,1]
	v_add_f32_e32 v31, v49, v31
	v_pk_mul_f32 v[46:47], v[16:17], v[104:105] op_sel_hi:[1,0]
	v_fmac_f32_e32 v12, v29, v33
	v_add_f32_e32 v29, v48, v52
	v_mul_f32_e32 v42, v31, v39
	v_pk_fma_f32 v[40:41], v[16:17], v[102:103], v[46:47] op_sel:[0,0,1] op_sel_hi:[1,1,0]
	v_pk_fma_f32 v[16:17], v[16:17], v[102:103], v[46:47] op_sel:[0,0,1] op_sel_hi:[1,0,0] neg_lo:[0,0,1] neg_hi:[0,0,1]
	v_pk_mul_f32 v[46:47], v[10:11], v[98:99] op_sel_hi:[1,0]
	v_fmac_f32_e32 v42, v29, v37
	v_mul_f32_e32 v29, v29, v39
	v_mov_b32_e32 v41, v17
	v_pk_fma_f32 v[16:17], v[10:11], v[108:109], v[46:47] op_sel:[0,0,1] op_sel_hi:[1,1,0]
	v_pk_fma_f32 v[10:11], v[10:11], v[108:109], v[46:47] op_sel:[0,0,1] op_sel_hi:[1,0,0] neg_lo:[0,0,1] neg_hi:[0,0,1]
	v_fma_f32 v43, v31, v37, -v29
	v_mov_b32_e32 v17, v11
	s_cbranch_vccnz .LBB0_16
; %bb.15:
	v_mad_u64_u32 v[10:11], s[0:1], s8, v18, 0
	v_mov_b32_e32 v44, v11
	v_mad_u64_u32 v[46:47], s[0:1], s9, v18, v[44:45]
	s_movk_i32 s0, 0x32f
	v_mov_b32_e32 v29, 0x50
	v_cmp_lt_u32_e32 vcc, s0, v0
	v_mov_b32_e32 v11, v46
	s_movk_i32 s2, 0xc0
	v_cndmask_b32_e32 v29, 0, v29, vcc
	v_or_b32_e32 v29, v1, v29
	v_mad_u64_u32 v[46:47], s[0:1], s12, v29, 0
	v_mov_b32_e32 v44, v47
	v_mad_u64_u32 v[48:49], s[0:1], s13, v29, v[44:45]
	s_lshl_b64 s[0:1], s[6:7], 3
	s_add_u32 s0, s14, s0
	s_addc_u32 s1, s15, s1
	v_mov_b32_e32 v47, v48
	v_lshl_add_u64 v[10:11], v[10:11], 3, s[0:1]
	v_lshl_add_u64 v[46:47], v[46:47], 3, v[10:11]
	v_add_u32_e32 v31, 16, v29
	global_store_dwordx2 v[46:47], v[62:63], off
	v_mad_u64_u32 v[46:47], s[0:1], s12, v31, 0
	v_mov_b32_e32 v44, v47
	v_mad_u64_u32 v[48:49], s[0:1], s13, v31, v[44:45]
	v_mov_b32_e32 v47, v48
	v_lshl_add_u64 v[46:47], v[46:47], 3, v[10:11]
	v_or_b32_e32 v31, 32, v29
	global_store_dwordx2 v[46:47], v[58:59], off
	v_mad_u64_u32 v[46:47], s[0:1], s12, v31, 0
	v_mov_b32_e32 v44, v47
	v_mad_u64_u32 v[48:49], s[0:1], s13, v31, v[44:45]
	v_mov_b32_e32 v47, v48
	v_lshl_add_u64 v[46:47], v[46:47], 3, v[10:11]
	v_add_u32_e32 v31, 48, v29
	global_store_dwordx2 v[46:47], v[68:69], off
	v_mad_u64_u32 v[46:47], s[0:1], s12, v31, 0
	v_mov_b32_e32 v44, v47
	v_mad_u64_u32 v[48:49], s[0:1], s13, v31, v[44:45]
	v_mov_b32_e32 v47, v48
	v_lshl_add_u64 v[46:47], v[46:47], 3, v[10:11]
	v_add_u32_e32 v29, 64, v29
	global_store_dwordx2 v[46:47], v[60:61], off
	v_mad_u64_u32 v[46:47], s[0:1], s12, v29, 0
	v_mov_b32_e32 v44, v47
	v_mad_u64_u32 v[48:49], s[0:1], s13, v29, v[44:45]
	v_mov_b32_e32 v47, v48
	v_lshl_add_u64 v[46:47], v[46:47], 3, v[10:11]
	v_and_or_b32 v29, v27, s2, v45
	global_store_dwordx2 v[46:47], v[64:65], off
	v_mad_u64_u32 v[46:47], s[0:1], s12, v29, 0
	v_mov_b32_e32 v44, v47
	v_mad_u64_u32 v[48:49], s[0:1], s13, v29, v[44:45]
	v_mov_b32_e32 v47, v48
	v_lshl_add_u64 v[46:47], v[46:47], 3, v[10:11]
	v_add_u32_e32 v31, 16, v29
	global_store_dwordx2 v[46:47], v[70:71], off
	v_mad_u64_u32 v[46:47], s[0:1], s12, v31, 0
	v_mov_b32_e32 v44, v47
	v_mad_u64_u32 v[48:49], s[0:1], s13, v31, v[44:45]
	v_mov_b32_e32 v47, v48
	v_lshl_add_u64 v[46:47], v[46:47], 3, v[10:11]
	v_add_u32_e32 v31, 32, v29
	;; [unrolled: 7-line block ×4, first 2 shown]
	global_store_dwordx2 v[46:47], v[74:75], off
	v_mad_u64_u32 v[46:47], s[0:1], s12, v29, 0
	v_mov_b32_e32 v44, v47
	v_mad_u64_u32 v[48:49], s[0:1], s13, v29, v[44:45]
	v_mov_b32_e32 v47, v48
	v_lshl_add_u64 v[46:47], v[46:47], 3, v[10:11]
	v_and_or_b32 v29, v25, s2, v19
	global_store_dwordx2 v[46:47], v[76:77], off
	v_mad_u64_u32 v[46:47], s[0:1], s12, v29, 0
	v_mov_b32_e32 v44, v47
	v_mad_u64_u32 v[48:49], s[0:1], s13, v29, v[44:45]
	v_mov_b32_e32 v47, v48
	v_lshl_add_u64 v[46:47], v[46:47], 3, v[10:11]
	v_add_u32_e32 v31, 16, v29
	global_store_dwordx2 v[46:47], v[14:15], off
	v_mad_u64_u32 v[46:47], s[0:1], s12, v31, 0
	v_mov_b32_e32 v44, v47
	v_mad_u64_u32 v[48:49], s[0:1], s13, v31, v[44:45]
	v_mov_b32_e32 v47, v48
	v_lshl_add_u64 v[46:47], v[46:47], 3, v[10:11]
	v_add_u32_e32 v31, 32, v29
	;; [unrolled: 7-line block ×4, first 2 shown]
	global_store_dwordx2 v[46:47], v[40:41], off
	v_mad_u64_u32 v[46:47], s[0:1], s12, v29, 0
	v_mov_b32_e32 v44, v47
	v_mad_u64_u32 v[48:49], s[0:1], s13, v29, v[44:45]
	v_mov_b32_e32 v47, v48
	v_lshl_add_u64 v[46:47], v[46:47], 3, v[10:11]
	s_and_b64 s[0:1], s[4:5], exec
	global_store_dwordx2 v[46:47], v[16:17], off
	s_cbranch_execz .LBB0_17
	s_branch .LBB0_20
.LBB0_16:
	s_mov_b64 s[0:1], 0
                                        ; implicit-def: $vgpr10_vgpr11
.LBB0_17:
	v_cmp_gt_u64_e32 vcc, s[16:17], v[20:21]
                                        ; implicit-def: $vgpr10_vgpr11
	s_and_saveexec_b64 s[2:3], vcc
	s_cbranch_execz .LBB0_19
; %bb.18:
	v_mad_u64_u32 v[10:11], s[10:11], s8, v18, 0
	v_mov_b32_e32 v20, v11
	v_mad_u64_u32 v[20:21], s[8:9], s9, v18, v[20:21]
	s_movk_i32 s8, 0x32f
	v_mov_b32_e32 v18, 0x50
	v_cmp_lt_u32_e32 vcc, s8, v0
	s_lshl_b64 s[6:7], s[6:7], 3
	s_add_u32 s6, s14, s6
	v_cndmask_b32_e32 v0, 0, v18, vcc
	v_or_b32_e32 v29, v1, v0
	v_mad_u64_u32 v[0:1], s[8:9], s12, v29, 0
	v_mov_b32_e32 v18, v1
	v_mov_b32_e32 v11, v20
	v_mad_u64_u32 v[20:21], s[8:9], s13, v29, v[18:19]
	s_addc_u32 s7, s15, s7
	v_mov_b32_e32 v1, v20
	v_lshl_add_u64 v[10:11], v[10:11], 3, s[6:7]
	v_lshl_add_u64 v[0:1], v[0:1], 3, v[10:11]
	v_add_u32_e32 v20, 16, v29
	global_store_dwordx2 v[0:1], v[62:63], off
	v_mad_u64_u32 v[0:1], s[6:7], s12, v20, 0
	v_mov_b32_e32 v18, v1
	v_mad_u64_u32 v[20:21], s[6:7], s13, v20, v[18:19]
	v_mov_b32_e32 v1, v20
	v_lshl_add_u64 v[0:1], v[0:1], 3, v[10:11]
	v_or_b32_e32 v20, 32, v29
	global_store_dwordx2 v[0:1], v[58:59], off
	v_mad_u64_u32 v[0:1], s[6:7], s12, v20, 0
	v_mov_b32_e32 v18, v1
	v_mad_u64_u32 v[20:21], s[6:7], s13, v20, v[18:19]
	v_mov_b32_e32 v1, v20
	v_lshl_add_u64 v[0:1], v[0:1], 3, v[10:11]
	v_add_u32_e32 v20, 48, v29
	global_store_dwordx2 v[0:1], v[68:69], off
	v_mad_u64_u32 v[0:1], s[6:7], s12, v20, 0
	v_mov_b32_e32 v18, v1
	v_mad_u64_u32 v[20:21], s[6:7], s13, v20, v[18:19]
	v_mov_b32_e32 v1, v20
	v_lshl_add_u64 v[0:1], v[0:1], 3, v[10:11]
	v_add_u32_e32 v20, 64, v29
	global_store_dwordx2 v[0:1], v[60:61], off
	v_mad_u64_u32 v[0:1], s[6:7], s12, v20, 0
	v_mov_b32_e32 v18, v1
	v_mad_u64_u32 v[20:21], s[6:7], s13, v20, v[18:19]
	v_mov_b32_e32 v1, v20
	s_movk_i32 s8, 0xc0
	v_lshl_add_u64 v[0:1], v[0:1], 3, v[10:11]
	v_and_or_b32 v27, v27, s8, v45
	global_store_dwordx2 v[0:1], v[64:65], off
	v_mad_u64_u32 v[0:1], s[6:7], s12, v27, 0
	v_mov_b32_e32 v18, v1
	v_mad_u64_u32 v[20:21], s[6:7], s13, v27, v[18:19]
	v_mov_b32_e32 v1, v20
	v_lshl_add_u64 v[0:1], v[0:1], 3, v[10:11]
	v_add_u32_e32 v20, 16, v27
	global_store_dwordx2 v[0:1], v[70:71], off
	v_mad_u64_u32 v[0:1], s[6:7], s12, v20, 0
	v_mov_b32_e32 v18, v1
	v_mad_u64_u32 v[20:21], s[6:7], s13, v20, v[18:19]
	v_mov_b32_e32 v1, v20
	v_lshl_add_u64 v[0:1], v[0:1], 3, v[10:11]
	v_add_u32_e32 v20, 32, v27
	;; [unrolled: 7-line block ×4, first 2 shown]
	global_store_dwordx2 v[0:1], v[74:75], off
	v_mad_u64_u32 v[0:1], s[6:7], s12, v20, 0
	v_mov_b32_e32 v18, v1
	v_mad_u64_u32 v[20:21], s[6:7], s13, v20, v[18:19]
	v_mov_b32_e32 v1, v20
	v_lshl_add_u64 v[0:1], v[0:1], 3, v[10:11]
	v_and_or_b32 v20, v25, s8, v19
	global_store_dwordx2 v[0:1], v[76:77], off
	v_mad_u64_u32 v[0:1], s[6:7], s12, v20, 0
	v_mov_b32_e32 v18, v1
	v_mad_u64_u32 v[18:19], s[6:7], s13, v20, v[18:19]
	v_mov_b32_e32 v1, v18
	v_lshl_add_u64 v[0:1], v[0:1], 3, v[10:11]
	global_store_dwordx2 v[0:1], v[14:15], off
	v_add_u32_e32 v15, 16, v20
	v_mad_u64_u32 v[0:1], s[6:7], s12, v15, 0
	v_mov_b32_e32 v14, v1
	v_mad_u64_u32 v[14:15], s[6:7], s13, v15, v[14:15]
	v_mov_b32_e32 v1, v14
	v_lshl_add_u64 v[0:1], v[0:1], 3, v[10:11]
	global_store_dwordx2 v[0:1], v[12:13], off
	v_add_u32_e32 v13, 32, v20
	v_mad_u64_u32 v[0:1], s[6:7], s12, v13, 0
	v_mov_b32_e32 v12, v1
	v_mad_u64_u32 v[12:13], s[6:7], s13, v13, v[12:13]
	v_mov_b32_e32 v1, v12
	v_lshl_add_u64 v[0:1], v[0:1], 3, v[10:11]
	v_add_u32_e32 v13, 48, v20
	global_store_dwordx2 v[0:1], v[42:43], off
	v_mad_u64_u32 v[0:1], s[6:7], s12, v13, 0
	v_mov_b32_e32 v12, v1
	v_mad_u64_u32 v[12:13], s[6:7], s13, v13, v[12:13]
	v_mov_b32_e32 v1, v12
	v_lshl_add_u64 v[0:1], v[0:1], 3, v[10:11]
	v_add_u32_e32 v13, 64, v20
	global_store_dwordx2 v[0:1], v[40:41], off
	v_mad_u64_u32 v[0:1], s[6:7], s12, v13, 0
	v_mov_b32_e32 v12, v1
	v_mad_u64_u32 v[12:13], s[6:7], s13, v13, v[12:13]
	v_mov_b32_e32 v1, v12
	s_andn2_b64 s[0:1], s[0:1], exec
	s_and_b64 s[4:5], s[4:5], exec
	v_lshl_add_u64 v[0:1], v[0:1], 3, v[10:11]
	s_or_b64 s[0:1], s[0:1], s[4:5]
	global_store_dwordx2 v[0:1], v[16:17], off
.LBB0_19:
	s_or_b64 exec, exec, s[2:3]
.LBB0_20:
	s_and_saveexec_b64 s[2:3], s[0:1]
	s_cbranch_execnz .LBB0_22
; %bb.21:
	s_endpgm
.LBB0_22:
	s_waitcnt vmcnt(8)
	v_mul_f32_e32 v14, v87, v89
	s_waitcnt vmcnt(0)
	v_pk_mul_f32 v[38:39], v[38:39], v[6:7] op_sel_hi:[0,1]
	v_fma_f32 v37, v86, v88, -v14
	v_pk_fma_f32 v[40:41], v[30:31], v[6:7], v[38:39] op_sel:[0,0,1] op_sel_hi:[1,1,0]
	v_pk_fma_f32 v[6:7], v[30:31], v[6:7], v[38:39] op_sel:[0,0,1] op_sel_hi:[0,1,0] neg_lo:[1,0,0] neg_hi:[1,0,0]
	v_mov_b32_e32 v41, v7
	v_pk_mul_f32 v[6:7], v[36:37], v[8:9] op_sel_hi:[0,1]
	v_pk_fma_f32 v[30:31], v[28:29], v[8:9], v[6:7] op_sel:[0,0,1] op_sel_hi:[1,1,0]
	v_pk_fma_f32 v[6:7], v[28:29], v[8:9], v[6:7] op_sel:[0,0,1] op_sel_hi:[0,1,0] neg_lo:[1,0,0] neg_hi:[1,0,0]
	v_mov_b32_e32 v31, v7
	v_pk_mul_f32 v[6:7], v[34:35], v[2:3] op_sel_hi:[0,1]
	;; [unrolled: 4-line block ×3, first 2 shown]
	v_pk_fma_f32 v[6:7], v[24:25], v[4:5], v[2:3] op_sel:[0,0,1] op_sel_hi:[1,1,0]
	v_pk_fma_f32 v[2:3], v[24:25], v[4:5], v[2:3] op_sel:[0,0,1] op_sel_hi:[0,1,0] neg_lo:[1,0,0] neg_hi:[1,0,0]
	v_mov_b32_e32 v7, v3
	v_pk_add_f32 v[2:3], v[30:31], v[8:9]
	v_pk_add_f32 v[4:5], v[40:41], v[6:7] neg_lo:[0,1] neg_hi:[0,1]
	v_pk_fma_f32 v[2:3], v[2:3], 0.5, v[22:23] op_sel_hi:[1,0,1] neg_lo:[1,0,0] neg_hi:[1,0,0]
	s_mov_b32 s0, 0x3f737871
	v_pk_add_f32 v[32:33], v[40:41], v[30:31] neg_lo:[0,1] neg_hi:[0,1]
	v_pk_add_f32 v[34:35], v[6:7], v[8:9] neg_lo:[0,1] neg_hi:[0,1]
	v_pk_fma_f32 v[24:25], v[4:5], s[0:1], v[2:3] op_sel:[1,0,0] op_sel_hi:[0,0,1] neg_lo:[1,0,0] neg_hi:[1,0,0]
	v_pk_add_f32 v[26:27], v[30:31], v[8:9] neg_lo:[0,1] neg_hi:[0,1]
	s_mov_b32 s2, 0x3f167918
	v_pk_add_f32 v[32:33], v[32:33], v[34:35]
	s_mov_b32 s4, 0x3e9e377a
	v_pk_mul_f32 v[28:29], v[26:27], s[2:3] op_sel:[1,0] op_sel_hi:[0,0]
	v_pk_fma_f32 v[24:25], v[26:27], s[2:3], v[24:25] op_sel:[1,0,0] op_sel_hi:[0,0,1] neg_lo:[1,0,0] neg_hi:[1,0,0]
	v_pk_mul_f32 v[34:35], v[32:33], s[4:5] op_sel_hi:[1,0]
	v_pk_fma_f32 v[2:3], v[4:5], s[0:1], v[2:3] op_sel:[1,0,0] op_sel_hi:[0,0,1]
	v_add_f32_e32 v34, v34, v24
	v_add_f32_e32 v24, v29, v3
	v_pk_fma_f32 v[2:3], v[26:27], s[2:3], v[2:3] op_sel:[1,0,0] op_sel_hi:[0,0,1]
	v_add_f32_e32 v35, v35, v24
	v_mov_b32_e32 v3, v25
	v_pk_add_f32 v[24:25], v[22:23], v[40:41]
	v_pk_mul_f32 v[12:13], v[78:79], v[80:81] op_sel:[1,0] op_sel_hi:[0,1]
	v_pk_add_f32 v[24:25], v[24:25], v[30:31]
	v_mov_b32_e32 v0, v81
	v_mov_b32_e32 v12, v13
	v_pk_add_f32 v[24:25], v[24:25], v[8:9]
	v_pk_mul_f32 v[0:1], v[78:79], v[0:1] op_sel:[1,0] op_sel_hi:[0,1]
	v_pk_fma_f32 v[12:13], v[78:79], v[80:81], v[12:13] op_sel:[1,0,0] op_sel_hi:[0,1,1]
	v_pk_add_f32 v[24:25], v[24:25], v[6:7]
	v_pk_fma_f32 v[0:1], v[78:79], v[80:81], v[0:1] neg_lo:[0,0,1] neg_hi:[0,0,1]
	v_pk_mul_f32 v[12:13], v[24:25], v[12:13] op_sel_hi:[1,0]
	v_mul_f32_e32 v42, v86, v89
	v_pk_fma_f32 v[28:29], v[24:25], v[0:1], v[12:13] op_sel:[0,0,1] op_sel_hi:[1,1,0]
	v_pk_fma_f32 v[0:1], v[24:25], v[0:1], v[12:13] op_sel:[0,0,1] op_sel_hi:[1,0,0] neg_lo:[0,0,1] neg_hi:[0,0,1]
	v_pk_add_f32 v[24:25], v[40:41], v[6:7]
	v_pk_add_f32 v[30:31], v[30:31], v[40:41] neg_lo:[0,1] neg_hi:[0,1]
	v_pk_fma_f32 v[22:23], v[24:25], 0.5, v[22:23] op_sel_hi:[1,0,1] neg_lo:[1,0,0] neg_hi:[1,0,0]
	v_pk_add_f32 v[6:7], v[8:9], v[6:7] neg_lo:[0,1] neg_hi:[0,1]
	v_fmac_f32_e32 v42, v87, v88
	v_pk_fma_f32 v[24:25], v[26:27], s[0:1], v[22:23] op_sel:[1,0,0] op_sel_hi:[0,0,1]
	v_pk_add_f32 v[6:7], v[30:31], v[6:7]
	v_pk_fma_f32 v[2:3], v[32:33], s[4:5], v[2:3] op_sel_hi:[1,0,1]
	v_mul_f32_e32 v0, v34, v42
	v_pk_mul_f32 v[32:33], v[4:5], s[2:3] op_sel:[1,0] op_sel_hi:[0,0]
	v_pk_fma_f32 v[24:25], v[4:5], s[2:3], v[24:25] op_sel:[1,0,0] op_sel_hi:[0,0,1] neg_lo:[1,0,0] neg_hi:[1,0,0]
	v_pk_mul_f32 v[8:9], v[6:7], s[4:5] op_sel_hi:[1,0]
	v_pk_fma_f32 v[22:23], v[26:27], s[0:1], v[22:23] op_sel:[1,0,0] op_sel_hi:[0,0,1] neg_lo:[1,0,0] neg_hi:[1,0,0]
	v_mul_f32_e32 v44, v82, v85
	v_fma_f32 v13, v35, v37, -v0
	v_add_f32_e32 v0, v8, v24
	v_add_f32_e32 v8, v33, v23
	v_pk_fma_f32 v[4:5], v[4:5], s[2:3], v[22:23] op_sel:[1,0,0] op_sel_hi:[0,0,1]
	v_mul_f32_e32 v14, v83, v85
	v_fmac_f32_e32 v44, v83, v84
	v_pk_mul_f32 v[16:17], v[94:95], v[96:97] op_sel:[1,0] op_sel_hi:[0,1]
	v_add_f32_e32 v8, v9, v8
	v_mov_b32_e32 v5, v25
	v_fma_f32 v43, v82, v84, -v14
	v_mov_b32_e32 v14, v97
	v_mov_b32_e32 v16, v17
	v_pk_mul_f32 v[20:21], v[90:91], v[92:93] op_sel:[1,0] op_sel_hi:[0,1]
	v_pk_fma_f32 v[4:5], v[6:7], s[4:5], v[4:5] op_sel_hi:[1,0,1]
	v_mul_f32_e32 v6, v8, v44
	v_pk_mul_f32 v[14:15], v[94:95], v[14:15] op_sel:[1,0] op_sel_hi:[0,1]
	v_pk_fma_f32 v[16:17], v[94:95], v[96:97], v[16:17] op_sel:[1,0,0] op_sel_hi:[0,1,1]
	v_mov_b32_e32 v18, v93
	v_mov_b32_e32 v20, v21
	v_fmac_f32_e32 v6, v0, v43
	v_mul_f32_e32 v0, v0, v44
	v_pk_fma_f32 v[14:15], v[94:95], v[96:97], v[14:15] neg_lo:[0,0,1] neg_hi:[0,0,1]
	v_pk_mul_f32 v[18:19], v[90:91], v[18:19] op_sel:[1,0] op_sel_hi:[0,1]
	v_pk_fma_f32 v[20:21], v[90:91], v[92:93], v[20:21] op_sel:[1,0,0] op_sel_hi:[0,1,1]
	v_fma_f32 v7, v8, v43, -v0
	v_pk_mul_f32 v[8:9], v[4:5], v[16:17] op_sel_hi:[1,0]
	v_pk_fma_f32 v[18:19], v[90:91], v[92:93], v[18:19] neg_lo:[0,0,1] neg_hi:[0,0,1]
	v_pk_fma_f32 v[16:17], v[4:5], v[14:15], v[8:9] op_sel:[0,0,1] op_sel_hi:[1,1,0]
	v_pk_fma_f32 v[4:5], v[4:5], v[14:15], v[8:9] op_sel:[0,0,1] op_sel_hi:[1,0,0] neg_lo:[0,0,1] neg_hi:[0,0,1]
	v_pk_mul_f32 v[8:9], v[2:3], v[20:21] op_sel_hi:[1,0]
	v_mov_b32_e32 v0, 0x78
	v_pk_fma_f32 v[14:15], v[2:3], v[18:19], v[8:9] op_sel:[0,0,1] op_sel_hi:[1,1,0]
	v_pk_fma_f32 v[2:3], v[2:3], v[18:19], v[8:9] op_sel:[0,0,1] op_sel_hi:[1,0,0] neg_lo:[0,0,1] neg_hi:[0,0,1]
	v_mad_u64_u32 v[8:9], s[0:1], s12, v0, v[10:11]
	s_mul_i32 s0, s13, 0x78
	v_mov_b32_e32 v0, 0xf8
	v_add_u32_e32 v9, s0, v9
	v_mov_b32_e32 v29, v1
	v_mad_u64_u32 v[0:1], s[0:1], s12, v0, v[10:11]
	v_mul_f32_e32 v12, v35, v42
	s_mul_i32 s0, s13, 0xf8
	v_fmac_f32_e32 v12, v34, v37
	v_add_u32_e32 v1, s0, v1
	global_store_dwordx2 v[8:9], v[28:29], off
	global_store_dwordx2 v[0:1], v[12:13], off
	v_mov_b32_e32 v0, 0x178
	v_mad_u64_u32 v[0:1], s[0:1], s12, v0, v[10:11]
	s_mul_i32 s0, s13, 0x178
	s_nop 0
	v_add_u32_e32 v1, s0, v1
	global_store_dwordx2 v[0:1], v[6:7], off
	v_mov_b32_e32 v0, 0x1f8
	v_mad_u64_u32 v[0:1], s[0:1], s12, v0, v[10:11]
	s_mul_i32 s0, s13, 0x1f8
	s_nop 0
	v_add_u32_e32 v1, s0, v1
	v_mov_b32_e32 v17, v5
	global_store_dwordx2 v[0:1], v[16:17], off
	v_mov_b32_e32 v0, 0x278
	v_mad_u64_u32 v[0:1], s[0:1], s12, v0, v[10:11]
	s_mul_i32 s0, s13, 0x278
	s_nop 0
	v_add_u32_e32 v1, s0, v1
	v_mov_b32_e32 v15, v3
	global_store_dwordx2 v[0:1], v[14:15], off
	s_endpgm
	.section	.rodata,"a",@progbits
	.p2align	6, 0x0
	.amdhsa_kernel fft_rtc_back_len80_factors_2_2_4_5_wgs_255_tpt_5_halfLds_dim2_sp_ip_CI_sbcc_twdbase8_2step_dirReg
		.amdhsa_group_segment_fixed_size 0
		.amdhsa_private_segment_fixed_size 0
		.amdhsa_kernarg_size 88
		.amdhsa_user_sgpr_count 2
		.amdhsa_user_sgpr_dispatch_ptr 0
		.amdhsa_user_sgpr_queue_ptr 0
		.amdhsa_user_sgpr_kernarg_segment_ptr 1
		.amdhsa_user_sgpr_dispatch_id 0
		.amdhsa_user_sgpr_kernarg_preload_length 0
		.amdhsa_user_sgpr_kernarg_preload_offset 0
		.amdhsa_user_sgpr_private_segment_size 0
		.amdhsa_uses_dynamic_stack 0
		.amdhsa_enable_private_segment 0
		.amdhsa_system_sgpr_workgroup_id_x 1
		.amdhsa_system_sgpr_workgroup_id_y 0
		.amdhsa_system_sgpr_workgroup_id_z 0
		.amdhsa_system_sgpr_workgroup_info 0
		.amdhsa_system_vgpr_workitem_id 0
		.amdhsa_next_free_vgpr 120
		.amdhsa_next_free_sgpr 24
		.amdhsa_accum_offset 120
		.amdhsa_reserve_vcc 1
		.amdhsa_float_round_mode_32 0
		.amdhsa_float_round_mode_16_64 0
		.amdhsa_float_denorm_mode_32 3
		.amdhsa_float_denorm_mode_16_64 3
		.amdhsa_dx10_clamp 1
		.amdhsa_ieee_mode 1
		.amdhsa_fp16_overflow 0
		.amdhsa_tg_split 0
		.amdhsa_exception_fp_ieee_invalid_op 0
		.amdhsa_exception_fp_denorm_src 0
		.amdhsa_exception_fp_ieee_div_zero 0
		.amdhsa_exception_fp_ieee_overflow 0
		.amdhsa_exception_fp_ieee_underflow 0
		.amdhsa_exception_fp_ieee_inexact 0
		.amdhsa_exception_int_div_zero 0
	.end_amdhsa_kernel
	.text
.Lfunc_end0:
	.size	fft_rtc_back_len80_factors_2_2_4_5_wgs_255_tpt_5_halfLds_dim2_sp_ip_CI_sbcc_twdbase8_2step_dirReg, .Lfunc_end0-fft_rtc_back_len80_factors_2_2_4_5_wgs_255_tpt_5_halfLds_dim2_sp_ip_CI_sbcc_twdbase8_2step_dirReg
                                        ; -- End function
	.section	.AMDGPU.csdata,"",@progbits
; Kernel info:
; codeLenInByte = 11148
; NumSgprs: 30
; NumVgprs: 120
; NumAgprs: 0
; TotalNumVgprs: 120
; ScratchSize: 0
; MemoryBound: 0
; FloatMode: 240
; IeeeMode: 1
; LDSByteSize: 0 bytes/workgroup (compile time only)
; SGPRBlocks: 3
; VGPRBlocks: 14
; NumSGPRsForWavesPerEU: 30
; NumVGPRsForWavesPerEU: 120
; AccumOffset: 120
; Occupancy: 4
; WaveLimiterHint : 1
; COMPUTE_PGM_RSRC2:SCRATCH_EN: 0
; COMPUTE_PGM_RSRC2:USER_SGPR: 2
; COMPUTE_PGM_RSRC2:TRAP_HANDLER: 0
; COMPUTE_PGM_RSRC2:TGID_X_EN: 1
; COMPUTE_PGM_RSRC2:TGID_Y_EN: 0
; COMPUTE_PGM_RSRC2:TGID_Z_EN: 0
; COMPUTE_PGM_RSRC2:TIDIG_COMP_CNT: 0
; COMPUTE_PGM_RSRC3_GFX90A:ACCUM_OFFSET: 29
; COMPUTE_PGM_RSRC3_GFX90A:TG_SPLIT: 0
	.text
	.p2alignl 6, 3212836864
	.fill 256, 4, 3212836864
	.type	__hip_cuid_dadc5748ff08ce04,@object ; @__hip_cuid_dadc5748ff08ce04
	.section	.bss,"aw",@nobits
	.globl	__hip_cuid_dadc5748ff08ce04
__hip_cuid_dadc5748ff08ce04:
	.byte	0                               ; 0x0
	.size	__hip_cuid_dadc5748ff08ce04, 1

	.ident	"AMD clang version 19.0.0git (https://github.com/RadeonOpenCompute/llvm-project roc-6.4.0 25133 c7fe45cf4b819c5991fe208aaa96edf142730f1d)"
	.section	".note.GNU-stack","",@progbits
	.addrsig
	.addrsig_sym __hip_cuid_dadc5748ff08ce04
	.amdgpu_metadata
---
amdhsa.kernels:
  - .agpr_count:     0
    .args:
      - .actual_access:  read_only
        .address_space:  global
        .offset:         0
        .size:           8
        .value_kind:     global_buffer
      - .address_space:  global
        .offset:         8
        .size:           8
        .value_kind:     global_buffer
      - .actual_access:  read_only
        .address_space:  global
        .offset:         16
        .size:           8
        .value_kind:     global_buffer
      - .actual_access:  read_only
        .address_space:  global
        .offset:         24
        .size:           8
        .value_kind:     global_buffer
      - .offset:         32
        .size:           8
        .value_kind:     by_value
      - .actual_access:  read_only
        .address_space:  global
        .offset:         40
        .size:           8
        .value_kind:     global_buffer
      - .actual_access:  read_only
        .address_space:  global
        .offset:         48
        .size:           8
        .value_kind:     global_buffer
      - .offset:         56
        .size:           4
        .value_kind:     by_value
      - .actual_access:  read_only
        .address_space:  global
        .offset:         64
        .size:           8
        .value_kind:     global_buffer
      - .actual_access:  read_only
        .address_space:  global
        .offset:         72
        .size:           8
        .value_kind:     global_buffer
      - .address_space:  global
        .offset:         80
        .size:           8
        .value_kind:     global_buffer
    .group_segment_fixed_size: 0
    .kernarg_segment_align: 8
    .kernarg_segment_size: 88
    .language:       OpenCL C
    .language_version:
      - 2
      - 0
    .max_flat_workgroup_size: 255
    .name:           fft_rtc_back_len80_factors_2_2_4_5_wgs_255_tpt_5_halfLds_dim2_sp_ip_CI_sbcc_twdbase8_2step_dirReg
    .private_segment_fixed_size: 0
    .sgpr_count:     30
    .sgpr_spill_count: 0
    .symbol:         fft_rtc_back_len80_factors_2_2_4_5_wgs_255_tpt_5_halfLds_dim2_sp_ip_CI_sbcc_twdbase8_2step_dirReg.kd
    .uniform_work_group_size: 1
    .uses_dynamic_stack: false
    .vgpr_count:     120
    .vgpr_spill_count: 0
    .wavefront_size: 64
amdhsa.target:   amdgcn-amd-amdhsa--gfx950
amdhsa.version:
  - 1
  - 2
...

	.end_amdgpu_metadata
